;; amdgpu-corpus repo=ROCm/rocFFT kind=compiled arch=gfx906 opt=O3
	.text
	.amdgcn_target "amdgcn-amd-amdhsa--gfx906"
	.amdhsa_code_object_version 6
	.protected	bluestein_single_fwd_len1521_dim1_dp_op_CI_CI ; -- Begin function bluestein_single_fwd_len1521_dim1_dp_op_CI_CI
	.globl	bluestein_single_fwd_len1521_dim1_dp_op_CI_CI
	.p2align	8
	.type	bluestein_single_fwd_len1521_dim1_dp_op_CI_CI,@function
bluestein_single_fwd_len1521_dim1_dp_op_CI_CI: ; @bluestein_single_fwd_len1521_dim1_dp_op_CI_CI
; %bb.0:
	s_load_dwordx4 s[16:19], s[4:5], 0x28
	s_mov_b64 s[50:51], s[2:3]
	v_mul_u32_u24_e32 v1, 0x231, v0
	s_mov_b64 s[48:49], s[0:1]
	v_add_u32_sdwa v240, s6, v1 dst_sel:DWORD dst_unused:UNUSED_PAD src0_sel:DWORD src1_sel:WORD_1
	v_mov_b32_e32 v241, 0
	s_add_u32 s48, s48, s7
	s_waitcnt lgkmcnt(0)
	v_cmp_gt_u64_e32 vcc, s[16:17], v[240:241]
	s_addc_u32 s49, s49, 0
	s_and_saveexec_b64 s[0:1], vcc
	s_cbranch_execz .LBB0_18
; %bb.1:
	s_load_dwordx4 s[8:11], s[4:5], 0x18
	s_load_dwordx4 s[12:15], s[4:5], 0x0
	s_movk_i32 s6, 0x75
	v_mul_lo_u16_sdwa v1, v1, s6 dst_sel:DWORD dst_unused:UNUSED_PAD src0_sel:WORD_1 src1_sel:DWORD
	v_sub_u16_e32 v255, v0, v1
	s_waitcnt lgkmcnt(0)
	s_load_dwordx4 s[0:3], s[8:9], 0x0
	v_lshlrev_b32_e32 v249, 4, v255
	s_mov_b32 s21, 0xbfddbe06
	s_mov_b32 s20, 0x4267c47c
	;; [unrolled: 1-line block ×3, first 2 shown]
	s_waitcnt lgkmcnt(0)
	v_mad_u64_u32 v[0:1], s[6:7], s2, v240, 0
	v_mad_u64_u32 v[2:3], s[6:7], s0, v255, 0
	s_mul_hi_u32 s6, s0, 0x750
	s_mulk_i32 s0, 0x750
	v_mad_u64_u32 v[4:5], s[2:3], s3, v240, v[1:2]
	s_mov_b32 s17, 0x3fec55a7
	s_mov_b32 s28, 0x42a4c3d2
	v_mad_u64_u32 v[5:6], s[2:3], s1, v255, v[3:4]
	v_mov_b32_e32 v1, v4
	v_lshlrev_b64 v[0:1], 4, v[0:1]
	v_mov_b32_e32 v6, s19
	v_mov_b32_e32 v3, v5
	v_add_co_u32_e32 v4, vcc, s18, v0
	v_addc_co_u32_e32 v5, vcc, v6, v1, vcc
	v_lshlrev_b64 v[0:1], 4, v[2:3]
	v_mov_b32_e32 v2, s13
	v_add_co_u32_e32 v0, vcc, v4, v0
	v_add_co_u32_e64 v253, s[2:3], s12, v249
	s_mulk_i32 s1, 0x750
	v_addc_co_u32_e32 v1, vcc, v5, v1, vcc
	v_addc_co_u32_e64 v20, vcc, 0, v2, s[2:3]
	s_add_i32 s1, s6, s1
	v_mov_b32_e32 v3, s1
	v_add_co_u32_e32 v2, vcc, s0, v0
	v_addc_co_u32_e32 v3, vcc, v1, v3, vcc
	global_load_dwordx4 v[52:55], v[0:1], off
	global_load_dwordx4 v[56:59], v[2:3], off
	global_load_dwordx4 v[48:51], v249, s[12:13]
	global_load_dwordx4 v[32:35], v249, s[12:13] offset:1872
	v_mov_b32_e32 v0, s1
	v_add_co_u32_e32 v4, vcc, s0, v2
	v_addc_co_u32_e32 v5, vcc, v3, v0, vcc
	v_add_co_u32_e32 v6, vcc, s0, v4
	v_addc_co_u32_e32 v7, vcc, v5, v0, vcc
	s_movk_i32 s6, 0x1000
	v_add_co_u32_e32 v8, vcc, s6, v253
	v_addc_co_u32_e32 v9, vcc, 0, v20, vcc
	global_load_dwordx4 v[28:31], v249, s[12:13] offset:3744
	v_add_co_u32_e32 v10, vcc, s0, v6
	global_load_dwordx4 v[60:63], v[4:5], off
	global_load_dwordx4 v[64:67], v[6:7], off
	v_addc_co_u32_e32 v11, vcc, v7, v0, vcc
	global_load_dwordx4 v[68:71], v[10:11], off
	global_load_dwordx4 v[36:39], v[8:9], off offset:1520
	global_load_dwordx4 v[1:4], v[8:9], off offset:3392
	v_add_co_u32_e32 v8, vcc, s0, v10
	v_addc_co_u32_e32 v9, vcc, v11, v0, vcc
	s_movk_i32 s6, 0x2000
	v_add_co_u32_e32 v12, vcc, s6, v253
	v_addc_co_u32_e32 v13, vcc, 0, v20, vcc
	v_add_co_u32_e32 v14, vcc, s0, v8
	v_addc_co_u32_e32 v15, vcc, v9, v0, vcc
	global_load_dwordx4 v[72:75], v[8:9], off
	global_load_dwordx4 v[76:79], v[14:15], off
	global_load_dwordx4 v[120:123], v[12:13], off offset:1168
	s_nop 0
	global_load_dwordx4 v[5:8], v[12:13], off offset:3040
	v_add_co_u32_e32 v12, vcc, s0, v14
	v_addc_co_u32_e32 v13, vcc, v15, v0, vcc
	s_movk_i32 s6, 0x3000
	v_add_co_u32_e32 v16, vcc, s6, v253
	v_addc_co_u32_e32 v17, vcc, 0, v20, vcc
	v_add_co_u32_e32 v18, vcc, s0, v12
	v_addc_co_u32_e32 v19, vcc, v13, v0, vcc
	global_load_dwordx4 v[80:83], v[12:13], off
	global_load_dwordx4 v[84:87], v[18:19], off
	global_load_dwordx4 v[40:43], v[16:17], off offset:816
	s_nop 0
	;; [unrolled: 12-line block ×3, first 2 shown]
	global_load_dwordx4 v[13:16], v[24:25], off offset:2336
	v_add_co_u32_e32 v24, vcc, s0, v26
	v_addc_co_u32_e32 v25, vcc, v27, v0, vcc
	s_movk_i32 s6, 0x5000
	v_add_co_u32_e32 v104, vcc, s6, v253
	v_addc_co_u32_e32 v105, vcc, 0, v20, vcc
	v_add_co_u32_e32 v106, vcc, s0, v24
	global_load_dwordx4 v[96:99], v[24:25], off
	v_addc_co_u32_e32 v107, vcc, v25, v0, vcc
	global_load_dwordx4 v[17:20], v[104:105], off offset:112
	global_load_dwordx4 v[100:103], v[106:107], off
	global_load_dwordx4 v[21:24], v[104:105], off offset:1984
	s_waitcnt vmcnt(23)
	v_mul_f64 v[104:105], v[54:55], v[50:51]
	v_mul_f64 v[106:107], v[52:53], v[50:51]
	s_mov_b32 s38, 0x66966769
	s_mov_b32 s22, 0x2ef20147
	;; [unrolled: 1-line block ×6, first 2 shown]
	v_fma_f64 v[52:53], v[52:53], v[48:49], v[104:105]
	s_waitcnt vmcnt(22)
	v_mul_f64 v[104:105], v[58:59], v[34:35]
	v_fma_f64 v[54:55], v[54:55], v[48:49], -v[106:107]
	v_mul_f64 v[106:107], v[56:57], v[34:35]
	s_mov_b32 s23, 0xbfedeba7
	s_mov_b32 s27, 0xbfe5384d
	;; [unrolled: 1-line block ×3, first 2 shown]
	s_waitcnt vmcnt(20)
	v_mul_f64 v[108:109], v[62:63], v[30:31]
	v_mul_f64 v[110:111], v[60:61], v[30:31]
	v_fma_f64 v[56:57], v[56:57], v[32:33], v[104:105]
	s_waitcnt vmcnt(17)
	v_mul_f64 v[112:113], v[66:67], v[38:39]
	s_waitcnt vmcnt(16)
	v_mul_f64 v[116:117], v[70:71], v[3:4]
	buffer_store_dword v32, off, s[48:51], 0 offset:80 ; 4-byte Folded Spill
	s_nop 0
	buffer_store_dword v33, off, s[48:51], 0 offset:84 ; 4-byte Folded Spill
	buffer_store_dword v34, off, s[48:51], 0 offset:88 ; 4-byte Folded Spill
	;; [unrolled: 1-line block ×3, first 2 shown]
	v_mul_f64 v[114:115], v[64:65], v[38:39]
	v_mul_f64 v[118:119], v[68:69], v[3:4]
	v_fma_f64 v[60:61], v[60:61], v[28:29], v[108:109]
	buffer_store_dword v28, off, s[48:51], 0 ; 4-byte Folded Spill
	s_nop 0
	buffer_store_dword v29, off, s[48:51], 0 offset:4 ; 4-byte Folded Spill
	buffer_store_dword v30, off, s[48:51], 0 offset:8 ; 4-byte Folded Spill
	;; [unrolled: 1-line block ×3, first 2 shown]
	s_mov_b32 s6, 0x1ea71119
	v_fma_f64 v[64:65], v[64:65], v[36:37], v[112:113]
	buffer_store_dword v36, off, s[48:51], 0 offset:128 ; 4-byte Folded Spill
	s_nop 0
	buffer_store_dword v37, off, s[48:51], 0 offset:132 ; 4-byte Folded Spill
	buffer_store_dword v38, off, s[48:51], 0 offset:136 ; 4-byte Folded Spill
	buffer_store_dword v39, off, s[48:51], 0 offset:140 ; 4-byte Folded Spill
	v_fma_f64 v[68:69], v[68:69], v[1:2], v[116:117]
	buffer_store_dword v1, off, s[48:51], 0 offset:16 ; 4-byte Folded Spill
	s_nop 0
	buffer_store_dword v2, off, s[48:51], 0 offset:20 ; 4-byte Folded Spill
	buffer_store_dword v3, off, s[48:51], 0 offset:24 ; 4-byte Folded Spill
	;; [unrolled: 1-line block ×3, first 2 shown]
	s_load_dwordx4 s[8:11], s[10:11], 0x0
	s_mov_b32 s0, 0xebaa3ed8
	s_mov_b32 s18, 0xb2365da1
	s_mov_b32 s24, 0xd0032e0c
	s_mov_b32 s34, 0x93053d00
	s_mov_b32 s7, 0x3fe22d96
	s_mov_b32 s1, 0x3fbedb7d
	s_mov_b32 s19, 0xbfd6b1d8
	s_mov_b32 s25, 0xbfe7f3cc
	s_mov_b32 s35, 0xbfef11f4
	s_mov_b32 s41, 0x3fe5384d
	s_mov_b32 s40, s26
	s_mov_b32 s31, 0x3fefc445
	s_mov_b32 s30, s38
	s_mov_b32 s43, 0x3fedeba7
	s_mov_b32 s42, s22
	v_mul_lo_u16_e32 v0, 13, v255
	v_lshlrev_b32_e32 v252, 4, v0
	s_load_dwordx2 s[4:5], s[4:5], 0x38
	v_fma_f64 v[58:59], v[58:59], v[32:33], -v[106:107]
	v_fma_f64 v[62:63], v[62:63], v[28:29], -v[110:111]
	;; [unrolled: 1-line block ×4, first 2 shown]
	ds_write_b128 v249, v[52:55]
	ds_write_b128 v249, v[56:59] offset:1872
	ds_write_b128 v249, v[60:63] offset:3744
	;; [unrolled: 1-line block ×4, first 2 shown]
	s_waitcnt vmcnt(29)
	v_mul_f64 v[52:53], v[74:75], v[122:123]
	s_waitcnt vmcnt(28)
	v_mul_f64 v[56:57], v[78:79], v[7:8]
	v_mul_f64 v[54:55], v[72:73], v[122:123]
	;; [unrolled: 1-line block ×3, first 2 shown]
	s_waitcnt vmcnt(25)
	v_mul_f64 v[60:61], v[82:83], v[42:43]
	s_waitcnt vmcnt(24)
	v_mul_f64 v[64:65], v[86:87], v[11:12]
	v_mul_f64 v[62:63], v[80:81], v[42:43]
	;; [unrolled: 1-line block ×3, first 2 shown]
	v_fma_f64 v[52:53], v[72:73], v[120:121], v[52:53]
	buffer_store_dword v120, off, s[48:51], 0 offset:144 ; 4-byte Folded Spill
	s_nop 0
	buffer_store_dword v121, off, s[48:51], 0 offset:148 ; 4-byte Folded Spill
	buffer_store_dword v122, off, s[48:51], 0 offset:152 ; 4-byte Folded Spill
	;; [unrolled: 1-line block ×3, first 2 shown]
	v_fma_f64 v[56:57], v[76:77], v[5:6], v[56:57]
	buffer_store_dword v5, off, s[48:51], 0 offset:32 ; 4-byte Folded Spill
	s_nop 0
	buffer_store_dword v6, off, s[48:51], 0 offset:36 ; 4-byte Folded Spill
	buffer_store_dword v7, off, s[48:51], 0 offset:40 ; 4-byte Folded Spill
	;; [unrolled: 1-line block ×3, first 2 shown]
	s_waitcnt vmcnt(28)
	v_mul_f64 v[72:73], v[94:95], v[15:16]
	s_waitcnt vmcnt(26)
	v_mul_f64 v[76:77], v[98:99], v[19:20]
	v_fma_f64 v[60:61], v[80:81], v[40:41], v[60:61]
	s_waitcnt vmcnt(24)
	v_mul_f64 v[80:81], v[102:103], v[23:24]
	v_fma_f64 v[64:65], v[84:85], v[9:10], v[64:65]
	buffer_store_dword v9, off, s[48:51], 0 offset:48 ; 4-byte Folded Spill
	s_nop 0
	buffer_store_dword v10, off, s[48:51], 0 offset:52 ; 4-byte Folded Spill
	buffer_store_dword v11, off, s[48:51], 0 offset:56 ; 4-byte Folded Spill
	;; [unrolled: 1-line block ×3, first 2 shown]
	v_fma_f64 v[62:63], v[82:83], v[40:41], -v[62:63]
	v_mul_f64 v[82:83], v[100:101], v[23:24]
	v_fma_f64 v[72:73], v[92:93], v[13:14], v[72:73]
	v_fma_f64 v[76:77], v[96:97], v[17:18], v[76:77]
	v_mul_f64 v[68:69], v[90:91], v[46:47]
	v_fma_f64 v[80:81], v[100:101], v[21:22], v[80:81]
	v_mul_f64 v[70:71], v[88:89], v[46:47]
	v_fma_f64 v[68:69], v[88:89], v[44:45], v[68:69]
	v_fma_f64 v[70:71], v[90:91], v[44:45], -v[70:71]
	v_fma_f64 v[54:55], v[74:75], v[120:121], -v[54:55]
	v_mul_f64 v[74:75], v[92:93], v[15:16]
	buffer_store_dword v13, off, s[48:51], 0 offset:64 ; 4-byte Folded Spill
	s_nop 0
	buffer_store_dword v14, off, s[48:51], 0 offset:68 ; 4-byte Folded Spill
	buffer_store_dword v15, off, s[48:51], 0 offset:72 ; 4-byte Folded Spill
	;; [unrolled: 1-line block ×3, first 2 shown]
	v_fma_f64 v[58:59], v[78:79], v[5:6], -v[58:59]
	v_mul_f64 v[78:79], v[96:97], v[19:20]
	buffer_store_dword v17, off, s[48:51], 0 offset:96 ; 4-byte Folded Spill
	s_nop 0
	buffer_store_dword v18, off, s[48:51], 0 offset:100 ; 4-byte Folded Spill
	buffer_store_dword v19, off, s[48:51], 0 offset:104 ; 4-byte Folded Spill
	;; [unrolled: 1-line block ×4, first 2 shown]
	s_nop 0
	buffer_store_dword v22, off, s[48:51], 0 offset:116 ; 4-byte Folded Spill
	buffer_store_dword v23, off, s[48:51], 0 offset:120 ; 4-byte Folded Spill
	;; [unrolled: 1-line block ×3, first 2 shown]
	v_fma_f64 v[66:67], v[86:87], v[9:10], -v[66:67]
	v_fma_f64 v[74:75], v[94:95], v[13:14], -v[74:75]
	;; [unrolled: 1-line block ×4, first 2 shown]
	ds_write_b128 v249, v[52:55] offset:9360
	ds_write_b128 v249, v[56:59] offset:11232
	;; [unrolled: 1-line block ×8, first 2 shown]
	s_waitcnt vmcnt(0) lgkmcnt(0)
	s_barrier
	ds_read_b128 v[72:75], v249
	ds_read_b128 v[52:55], v249 offset:1872
	ds_read_b128 v[76:79], v249 offset:3744
	;; [unrolled: 1-line block ×5, first 2 shown]
	s_waitcnt lgkmcnt(4)
	v_add_f64 v[56:57], v[72:73], v[52:53]
	v_add_f64 v[58:59], v[74:75], v[54:55]
	s_waitcnt lgkmcnt(3)
	v_add_f64 v[56:57], v[56:57], v[76:77]
	v_add_f64 v[58:59], v[58:59], v[78:79]
	;; [unrolled: 3-line block ×5, first 2 shown]
	ds_read_b128 v[56:59], v249 offset:11232
	s_waitcnt lgkmcnt(0)
	v_add_f64 v[68:69], v[60:61], v[56:57]
	v_add_f64 v[70:71], v[62:63], v[58:59]
	ds_read_b128 v[60:63], v249 offset:13104
	s_waitcnt lgkmcnt(0)
	v_add_f64 v[88:89], v[68:69], v[60:61]
	v_add_f64 v[90:91], v[70:71], v[62:63]
	;; [unrolled: 4-line block ×3, first 2 shown]
	ds_read_b128 v[88:91], v249 offset:16848
	ds_read_b128 v[92:95], v249 offset:22464
	s_waitcnt lgkmcnt(0)
	v_add_f64 v[108:109], v[54:55], -v[94:95]
	v_add_f64 v[104:105], v[96:97], v[88:89]
	v_add_f64 v[106:107], v[98:99], v[90:91]
	v_add_f64 v[110:111], v[52:53], -v[92:93]
	ds_read_b128 v[96:99], v249 offset:18720
	ds_read_b128 v[100:103], v249 offset:20592
	v_add_f64 v[112:113], v[52:53], v[92:93]
	v_add_f64 v[114:115], v[54:55], v[94:95]
	s_waitcnt lgkmcnt(0)
	v_mul_f64 v[116:117], v[108:109], s[20:21]
	v_add_f64 v[104:105], v[104:105], v[96:97]
	v_add_f64 v[106:107], v[106:107], v[98:99]
	v_mul_f64 v[118:119], v[110:111], s[20:21]
	v_mul_f64 v[120:121], v[108:109], s[38:39]
	;; [unrolled: 1-line block ×6, first 2 shown]
	v_add_f64 v[52:53], v[104:105], v[100:101]
	v_add_f64 v[54:55], v[106:107], v[102:103]
	v_fma_f64 v[104:105], v[112:113], s[16:17], -v[116:117]
	v_fma_f64 v[106:107], v[114:115], s[16:17], v[118:119]
	v_mul_f64 v[138:139], v[110:111], s[26:27]
	v_add_f64 v[148:149], v[78:79], -v[102:103]
	v_add_f64 v[150:151], v[76:77], -v[100:101]
	v_fma_f64 v[128:129], v[112:113], s[0:1], -v[120:121]
	v_add_f64 v[52:53], v[52:53], v[92:93]
	v_add_f64 v[54:55], v[54:55], v[94:95]
	;; [unrolled: 1-line block ×4, first 2 shown]
	v_fma_f64 v[104:105], v[112:113], s[16:17], v[116:117]
	v_fma_f64 v[106:107], v[114:115], s[16:17], -v[118:119]
	v_mul_f64 v[116:117], v[108:109], s[28:29]
	v_mul_f64 v[118:119], v[110:111], s[28:29]
	;; [unrolled: 1-line block ×4, first 2 shown]
	v_fma_f64 v[130:131], v[114:115], s[0:1], v[122:123]
	v_fma_f64 v[120:121], v[112:113], s[0:1], v[120:121]
	v_fma_f64 v[122:123], v[114:115], s[0:1], -v[122:123]
	v_fma_f64 v[140:141], v[112:113], s[18:19], -v[132:133]
	;; [unrolled: 1-line block ×3, first 2 shown]
	v_fma_f64 v[126:127], v[114:115], s[6:7], v[118:119]
	v_fma_f64 v[116:117], v[112:113], s[6:7], v[116:117]
	v_fma_f64 v[118:119], v[114:115], s[6:7], -v[118:119]
	v_fma_f64 v[142:143], v[114:115], s[18:19], v[134:135]
	v_fma_f64 v[132:133], v[112:113], s[18:19], v[132:133]
	v_fma_f64 v[134:135], v[114:115], s[18:19], -v[134:135]
	v_fma_f64 v[144:145], v[112:113], s[24:25], -v[136:137]
	v_fma_f64 v[146:147], v[114:115], s[24:25], v[138:139]
	v_fma_f64 v[136:137], v[112:113], s[24:25], v[136:137]
	v_fma_f64 v[138:139], v[114:115], s[24:25], -v[138:139]
	v_add_f64 v[76:77], v[76:77], v[100:101]
	v_add_f64 v[78:79], v[78:79], v[102:103]
	v_mul_f64 v[100:101], v[148:149], s[28:29]
	v_mul_f64 v[102:103], v[150:151], s[28:29]
	v_fma_f64 v[152:153], v[112:113], s[34:35], -v[108:109]
	v_fma_f64 v[154:155], v[114:115], s[34:35], v[110:111]
	v_fma_f64 v[108:109], v[112:113], s[34:35], v[108:109]
	v_fma_f64 v[110:111], v[114:115], s[34:35], -v[110:111]
	v_add_f64 v[104:105], v[72:73], v[104:105]
	v_add_f64 v[106:107], v[74:75], v[106:107]
	;; [unrolled: 1-line block ×18, first 2 shown]
	v_fma_f64 v[136:137], v[76:77], s[6:7], -v[100:101]
	v_fma_f64 v[138:139], v[78:79], s[6:7], v[102:103]
	v_add_f64 v[152:153], v[72:73], v[152:153]
	v_add_f64 v[154:155], v[74:75], v[154:155]
	;; [unrolled: 1-line block ×4, first 2 shown]
	v_mul_f64 v[108:109], v[148:149], s[22:23]
	v_mul_f64 v[110:111], v[150:151], s[22:23]
	v_add_f64 v[92:93], v[136:137], v[92:93]
	v_add_f64 v[94:95], v[138:139], v[94:95]
	v_mul_f64 v[136:137], v[148:149], s[36:37]
	v_mul_f64 v[138:139], v[150:151], s[36:37]
	v_fma_f64 v[100:101], v[76:77], s[6:7], v[100:101]
	v_fma_f64 v[102:103], v[78:79], s[6:7], -v[102:103]
	v_fma_f64 v[156:157], v[76:77], s[18:19], -v[108:109]
	v_fma_f64 v[158:159], v[78:79], s[18:19], v[110:111]
	v_fma_f64 v[108:109], v[76:77], s[18:19], v[108:109]
	v_fma_f64 v[110:111], v[78:79], s[18:19], -v[110:111]
	v_fma_f64 v[160:161], v[76:77], s[34:35], -v[136:137]
	v_fma_f64 v[162:163], v[78:79], s[34:35], v[138:139]
	v_add_f64 v[100:101], v[100:101], v[104:105]
	v_add_f64 v[102:103], v[102:103], v[106:107]
	;; [unrolled: 1-line block ×4, first 2 shown]
	v_mul_f64 v[124:125], v[148:149], s[40:41]
	v_mul_f64 v[126:127], v[150:151], s[40:41]
	v_add_f64 v[108:109], v[108:109], v[116:117]
	v_add_f64 v[110:111], v[110:111], v[118:119]
	;; [unrolled: 1-line block ×4, first 2 shown]
	v_mul_f64 v[128:129], v[148:149], s[30:31]
	v_fma_f64 v[130:131], v[76:77], s[34:35], v[136:137]
	v_fma_f64 v[136:137], v[78:79], s[34:35], -v[138:139]
	v_mul_f64 v[138:139], v[150:151], s[30:31]
	v_fma_f64 v[156:157], v[76:77], s[24:25], -v[124:125]
	v_fma_f64 v[158:159], v[78:79], s[24:25], v[126:127]
	v_fma_f64 v[126:127], v[78:79], s[24:25], -v[126:127]
	v_fma_f64 v[124:125], v[76:77], s[24:25], v[124:125]
	v_fma_f64 v[160:161], v[76:77], s[0:1], -v[128:129]
	v_add_f64 v[120:121], v[130:131], v[120:121]
	v_add_f64 v[122:123], v[136:137], v[122:123]
	v_fma_f64 v[130:131], v[78:79], s[0:1], v[138:139]
	v_add_f64 v[136:137], v[156:157], v[140:141]
	v_add_f64 v[140:141], v[158:159], v[142:143]
	;; [unrolled: 1-line block ×3, first 2 shown]
	v_add_f64 v[134:135], v[82:83], -v[98:99]
	v_add_f64 v[142:143], v[80:81], -v[96:97]
	s_mov_b32 s21, 0x3fddbe06
	v_add_f64 v[124:125], v[124:125], v[132:133]
	v_add_f64 v[132:133], v[160:161], v[144:145]
	;; [unrolled: 1-line block ×3, first 2 shown]
	v_mul_f64 v[144:145], v[148:149], s[20:21]
	v_mul_f64 v[146:147], v[150:151], s[20:21]
	v_add_f64 v[80:81], v[80:81], v[96:97]
	v_add_f64 v[82:83], v[82:83], v[98:99]
	v_mul_f64 v[96:97], v[134:135], s[38:39]
	v_mul_f64 v[98:99], v[142:143], s[38:39]
	v_fma_f64 v[128:129], v[76:77], s[0:1], v[128:129]
	v_fma_f64 v[138:139], v[78:79], s[0:1], -v[138:139]
	v_fma_f64 v[148:149], v[76:77], s[16:17], -v[144:145]
	v_fma_f64 v[150:151], v[78:79], s[16:17], v[146:147]
	v_fma_f64 v[76:77], v[76:77], s[16:17], v[144:145]
	v_fma_f64 v[78:79], v[78:79], s[16:17], -v[146:147]
	v_fma_f64 v[144:145], v[80:81], s[0:1], -v[96:97]
	v_fma_f64 v[146:147], v[82:83], s[0:1], v[98:99]
	v_fma_f64 v[96:97], v[80:81], s[0:1], v[96:97]
	v_fma_f64 v[98:99], v[82:83], s[0:1], -v[98:99]
	v_add_f64 v[112:113], v[128:129], v[112:113]
	v_add_f64 v[128:129], v[148:149], v[152:153]
	;; [unrolled: 1-line block ×6, first 2 shown]
	v_mul_f64 v[92:93], v[134:135], s[36:37]
	v_mul_f64 v[144:145], v[134:135], s[42:43]
	;; [unrolled: 1-line block ×4, first 2 shown]
	v_add_f64 v[96:97], v[96:97], v[100:101]
	v_add_f64 v[98:99], v[98:99], v[102:103]
	;; [unrolled: 1-line block ×4, first 2 shown]
	v_fma_f64 v[148:149], v[80:81], s[34:35], -v[92:93]
	v_fma_f64 v[92:93], v[80:81], s[34:35], v[92:93]
	v_fma_f64 v[100:101], v[80:81], s[18:19], -v[144:145]
	v_fma_f64 v[102:103], v[82:83], s[18:19], v[146:147]
	v_fma_f64 v[150:151], v[82:83], s[34:35], v[94:95]
	v_fma_f64 v[94:95], v[82:83], s[34:35], -v[94:95]
	s_barrier
	v_add_f64 v[104:105], v[148:149], v[104:105]
	v_add_f64 v[92:93], v[92:93], v[108:109]
	v_mul_f64 v[108:109], v[134:135], s[20:21]
	v_add_f64 v[100:101], v[100:101], v[116:117]
	v_add_f64 v[102:103], v[102:103], v[118:119]
	v_fma_f64 v[116:117], v[80:81], s[18:19], v[144:145]
	v_fma_f64 v[118:119], v[82:83], s[18:19], -v[146:147]
	v_mul_f64 v[144:145], v[134:135], s[28:29]
	v_mul_f64 v[146:147], v[142:143], s[28:29]
	v_add_f64 v[94:95], v[94:95], v[110:111]
	v_mul_f64 v[110:111], v[142:143], s[20:21]
	v_fma_f64 v[148:149], v[80:81], s[16:17], -v[108:109]
	v_fma_f64 v[108:109], v[80:81], s[16:17], v[108:109]
	v_add_f64 v[116:117], v[116:117], v[120:121]
	v_add_f64 v[118:119], v[118:119], v[122:123]
	v_fma_f64 v[120:121], v[80:81], s[6:7], -v[144:145]
	v_fma_f64 v[122:123], v[82:83], s[6:7], v[146:147]
	v_add_f64 v[106:107], v[150:151], v[106:107]
	v_fma_f64 v[150:151], v[82:83], s[16:17], v[110:111]
	v_fma_f64 v[110:111], v[82:83], s[16:17], -v[110:111]
	v_add_f64 v[108:109], v[108:109], v[124:125]
	v_mul_f64 v[124:125], v[134:135], s[26:27]
	v_fma_f64 v[134:135], v[80:81], s[6:7], v[144:145]
	v_add_f64 v[120:121], v[120:121], v[132:133]
	v_add_f64 v[122:123], v[122:123], v[130:131]
	v_add_f64 v[130:131], v[86:87], -v[90:91]
	v_add_f64 v[132:133], v[84:85], -v[88:89]
	v_add_f64 v[110:111], v[110:111], v[126:127]
	v_mul_f64 v[126:127], v[142:143], s[26:27]
	v_fma_f64 v[144:145], v[80:81], s[24:25], -v[124:125]
	v_add_f64 v[84:85], v[84:85], v[88:89]
	v_add_f64 v[86:87], v[86:87], v[90:91]
	v_fma_f64 v[142:143], v[82:83], s[6:7], -v[146:147]
	v_mul_f64 v[88:89], v[130:131], s[22:23]
	v_mul_f64 v[90:91], v[132:133], s[22:23]
	v_fma_f64 v[80:81], v[80:81], s[24:25], v[124:125]
	v_fma_f64 v[146:147], v[82:83], s[24:25], v[126:127]
	v_fma_f64 v[82:83], v[82:83], s[24:25], -v[126:127]
	v_add_f64 v[112:113], v[134:135], v[112:113]
	v_add_f64 v[124:125], v[144:145], v[128:129]
	;; [unrolled: 1-line block ×3, first 2 shown]
	v_fma_f64 v[128:129], v[84:85], s[18:19], -v[88:89]
	v_fma_f64 v[134:135], v[86:87], s[18:19], v[90:91]
	v_add_f64 v[72:73], v[80:81], v[72:73]
	v_mul_f64 v[80:81], v[130:131], s[40:41]
	v_add_f64 v[74:75], v[82:83], v[74:75]
	v_mul_f64 v[82:83], v[132:133], s[40:41]
	v_fma_f64 v[88:89], v[84:85], s[18:19], v[88:89]
	v_fma_f64 v[90:91], v[86:87], s[18:19], -v[90:91]
	v_add_f64 v[76:77], v[128:129], v[76:77]
	v_add_f64 v[78:79], v[134:135], v[78:79]
	v_mul_f64 v[128:129], v[130:131], s[20:21]
	v_mul_f64 v[134:135], v[132:133], s[20:21]
	v_add_f64 v[126:127], v[146:147], v[138:139]
	v_fma_f64 v[138:139], v[84:85], s[24:25], -v[80:81]
	v_fma_f64 v[142:143], v[86:87], s[24:25], v[82:83]
	v_add_f64 v[88:89], v[88:89], v[96:97]
	v_add_f64 v[90:91], v[90:91], v[98:99]
	v_fma_f64 v[80:81], v[84:85], s[24:25], v[80:81]
	v_fma_f64 v[82:83], v[86:87], s[24:25], -v[82:83]
	v_fma_f64 v[96:97], v[84:85], s[16:17], -v[128:129]
	v_fma_f64 v[98:99], v[86:87], s[16:17], v[134:135]
	s_mov_b32 s41, 0x3fcea1e5
	s_mov_b32 s40, s36
	v_add_f64 v[104:105], v[138:139], v[104:105]
	v_mul_f64 v[138:139], v[130:131], s[38:39]
	v_add_f64 v[80:81], v[80:81], v[92:93]
	v_add_f64 v[82:83], v[82:83], v[94:95]
	;; [unrolled: 1-line block ×4, first 2 shown]
	v_fma_f64 v[96:97], v[84:85], s[16:17], v[128:129]
	v_fma_f64 v[98:99], v[86:87], s[16:17], -v[134:135]
	v_mul_f64 v[128:129], v[130:131], s[40:41]
	v_mul_f64 v[134:135], v[132:133], s[40:41]
	v_add_f64 v[106:107], v[142:143], v[106:107]
	v_mul_f64 v[142:143], v[132:133], s[38:39]
	s_mov_b32 s39, 0x3fea55e2
	s_mov_b32 s38, s28
	v_add_f64 v[96:97], v[96:97], v[116:117]
	v_add_f64 v[98:99], v[98:99], v[118:119]
	v_fma_f64 v[116:117], v[84:85], s[34:35], -v[128:129]
	v_fma_f64 v[118:119], v[86:87], s[34:35], v[134:135]
	v_add_f64 v[136:137], v[148:149], v[136:137]
	v_fma_f64 v[100:101], v[84:85], s[0:1], -v[138:139]
	v_fma_f64 v[138:139], v[84:85], s[0:1], v[138:139]
	v_mul_f64 v[130:131], v[130:131], s[38:39]
	v_mul_f64 v[132:133], v[132:133], s[38:39]
	v_fma_f64 v[128:129], v[84:85], s[34:35], v[128:129]
	v_add_f64 v[116:117], v[116:117], v[120:121]
	v_add_f64 v[118:119], v[118:119], v[122:123]
	v_add_f64 v[120:121], v[66:67], -v[70:71]
	v_add_f64 v[122:123], v[64:65], -v[68:69]
	v_add_f64 v[64:65], v[64:65], v[68:69]
	v_add_f64 v[66:67], v[66:67], v[70:71]
	v_fma_f64 v[102:103], v[86:87], s[0:1], v[142:143]
	v_fma_f64 v[142:143], v[86:87], s[0:1], -v[142:143]
	v_add_f64 v[100:101], v[100:101], v[136:137]
	v_add_f64 v[108:109], v[138:139], v[108:109]
	v_mul_f64 v[68:69], v[120:121], s[26:27]
	v_mul_f64 v[70:71], v[122:123], s[26:27]
	v_fma_f64 v[134:135], v[86:87], s[34:35], -v[134:135]
	v_fma_f64 v[136:137], v[84:85], s[6:7], -v[130:131]
	v_fma_f64 v[138:139], v[86:87], s[6:7], v[132:133]
	v_fma_f64 v[84:85], v[84:85], s[6:7], v[130:131]
	v_fma_f64 v[86:87], v[86:87], s[6:7], -v[132:133]
	v_add_f64 v[112:113], v[128:129], v[112:113]
	v_fma_f64 v[128:129], v[64:65], s[24:25], -v[68:69]
	v_fma_f64 v[130:131], v[66:67], s[24:25], v[70:71]
	v_fma_f64 v[68:69], v[64:65], s[24:25], v[68:69]
	v_fma_f64 v[70:71], v[66:67], s[24:25], -v[70:71]
	v_add_f64 v[114:115], v[134:135], v[114:115]
	v_add_f64 v[72:73], v[84:85], v[72:73]
	;; [unrolled: 1-line block ×3, first 2 shown]
	v_mul_f64 v[84:85], v[120:121], s[30:31]
	v_mul_f64 v[86:87], v[122:123], s[30:31]
	v_add_f64 v[76:77], v[128:129], v[76:77]
	v_add_f64 v[78:79], v[130:131], v[78:79]
	v_mul_f64 v[128:129], v[120:121], s[28:29]
	v_mul_f64 v[130:131], v[122:123], s[28:29]
	v_add_f64 v[68:69], v[68:69], v[88:89]
	v_add_f64 v[70:71], v[70:71], v[90:91]
	v_fma_f64 v[132:133], v[64:65], s[0:1], -v[84:85]
	v_fma_f64 v[134:135], v[66:67], s[0:1], v[86:87]
	v_fma_f64 v[84:85], v[64:65], s[0:1], v[84:85]
	v_fma_f64 v[86:87], v[66:67], s[0:1], -v[86:87]
	v_fma_f64 v[88:89], v[64:65], s[6:7], -v[128:129]
	v_fma_f64 v[90:91], v[66:67], s[6:7], v[130:131]
	v_add_f64 v[140:141], v[150:151], v[140:141]
	v_add_f64 v[110:111], v[142:143], v[110:111]
	;; [unrolled: 1-line block ×8, first 2 shown]
	v_fma_f64 v[88:89], v[64:65], s[6:7], v[128:129]
	v_fma_f64 v[90:91], v[66:67], s[6:7], -v[130:131]
	v_mul_f64 v[128:129], v[120:121], s[20:21]
	v_mul_f64 v[130:131], v[122:123], s[20:21]
	;; [unrolled: 1-line block ×4, first 2 shown]
	v_add_f64 v[102:103], v[102:103], v[140:141]
	v_mul_f64 v[120:121], v[120:121], s[22:23]
	v_add_f64 v[88:89], v[88:89], v[96:97]
	v_add_f64 v[90:91], v[90:91], v[98:99]
	v_fma_f64 v[96:97], v[64:65], s[16:17], -v[128:129]
	v_fma_f64 v[98:99], v[66:67], s[16:17], v[130:131]
	v_fma_f64 v[92:93], v[64:65], s[34:35], -v[132:133]
	v_fma_f64 v[94:95], v[66:67], s[34:35], v[134:135]
	v_fma_f64 v[132:133], v[64:65], s[34:35], v[132:133]
	v_fma_f64 v[134:135], v[66:67], s[34:35], -v[134:135]
	v_mul_f64 v[122:123], v[122:123], s[22:23]
	v_add_f64 v[124:125], v[136:137], v[124:125]
	v_add_f64 v[96:97], v[96:97], v[116:117]
	;; [unrolled: 1-line block ×3, first 2 shown]
	v_add_f64 v[116:117], v[58:59], -v[62:63]
	v_add_f64 v[118:119], v[56:57], -v[60:61]
	v_add_f64 v[92:93], v[92:93], v[100:101]
	v_add_f64 v[94:95], v[94:95], v[102:103]
	;; [unrolled: 1-line block ×4, first 2 shown]
	v_fma_f64 v[108:109], v[64:65], s[16:17], v[128:129]
	v_fma_f64 v[110:111], v[66:67], s[16:17], -v[130:131]
	v_add_f64 v[128:129], v[56:57], v[60:61]
	v_add_f64 v[130:131], v[58:59], v[62:63]
	v_mul_f64 v[56:57], v[116:117], s[36:37]
	v_mul_f64 v[58:59], v[118:119], s[36:37]
	v_add_f64 v[126:127], v[138:139], v[126:127]
	v_fma_f64 v[60:61], v[64:65], s[18:19], v[120:121]
	v_add_f64 v[108:109], v[108:109], v[112:113]
	v_add_f64 v[110:111], v[110:111], v[114:115]
	v_fma_f64 v[112:113], v[64:65], s[18:19], -v[120:121]
	v_fma_f64 v[114:115], v[66:67], s[18:19], v[122:123]
	v_fma_f64 v[62:63], v[66:67], s[18:19], -v[122:123]
	v_mul_f64 v[120:121], v[116:117], s[20:21]
	v_mul_f64 v[122:123], v[118:119], s[20:21]
	v_fma_f64 v[64:65], v[128:129], s[34:35], -v[56:57]
	v_fma_f64 v[66:67], v[130:131], s[34:35], v[58:59]
	v_fma_f64 v[56:57], v[128:129], s[34:35], v[56:57]
	v_add_f64 v[112:113], v[112:113], v[124:125]
	v_add_f64 v[114:115], v[114:115], v[126:127]
	v_add_f64 v[124:125], v[60:61], v[72:73]
	v_add_f64 v[126:127], v[62:63], v[74:75]
	v_fma_f64 v[58:59], v[130:131], s[34:35], -v[58:59]
	v_fma_f64 v[72:73], v[128:129], s[16:17], -v[120:121]
	v_fma_f64 v[74:75], v[130:131], s[16:17], v[122:123]
	v_add_f64 v[60:61], v[64:65], v[76:77]
	v_add_f64 v[62:63], v[66:67], v[78:79]
	v_mul_f64 v[76:77], v[116:117], s[26:27]
	v_mul_f64 v[78:79], v[118:119], s[26:27]
	v_add_f64 v[56:57], v[56:57], v[68:69]
	v_add_f64 v[58:59], v[58:59], v[70:71]
	;; [unrolled: 1-line block ×4, first 2 shown]
	v_fma_f64 v[68:69], v[128:129], s[16:17], v[120:121]
	v_fma_f64 v[70:71], v[130:131], s[16:17], -v[122:123]
	v_mul_f64 v[104:105], v[116:117], s[38:39]
	v_mul_f64 v[106:107], v[118:119], s[38:39]
	v_fma_f64 v[72:73], v[128:129], s[24:25], -v[76:77]
	v_fma_f64 v[74:75], v[130:131], s[24:25], v[78:79]
	v_fma_f64 v[76:77], v[128:129], s[24:25], v[76:77]
	v_fma_f64 v[78:79], v[130:131], s[24:25], -v[78:79]
	v_add_f64 v[68:69], v[68:69], v[80:81]
	v_add_f64 v[70:71], v[70:71], v[82:83]
	v_fma_f64 v[80:81], v[128:129], s[6:7], -v[104:105]
	v_fma_f64 v[82:83], v[130:131], s[6:7], v[106:107]
	v_add_f64 v[72:73], v[72:73], v[84:85]
	v_add_f64 v[74:75], v[74:75], v[86:87]
	;; [unrolled: 1-line block ×4, first 2 shown]
	v_fma_f64 v[84:85], v[128:129], s[6:7], v[104:105]
	v_fma_f64 v[86:87], v[130:131], s[6:7], -v[106:107]
	v_mul_f64 v[88:89], v[116:117], s[22:23]
	v_mul_f64 v[90:91], v[118:119], s[22:23]
	v_add_f64 v[80:81], v[80:81], v[92:93]
	v_add_f64 v[82:83], v[82:83], v[94:95]
	v_mul_f64 v[92:93], v[116:117], s[30:31]
	v_mul_f64 v[94:95], v[118:119], s[30:31]
	v_add_f64 v[84:85], v[84:85], v[100:101]
	v_add_f64 v[86:87], v[86:87], v[102:103]
	v_fma_f64 v[100:101], v[128:129], s[18:19], -v[88:89]
	v_fma_f64 v[102:103], v[130:131], s[18:19], v[90:91]
	v_fma_f64 v[104:105], v[128:129], s[18:19], v[88:89]
	v_fma_f64 v[106:107], v[130:131], s[18:19], -v[90:91]
	v_fma_f64 v[116:117], v[128:129], s[0:1], -v[92:93]
	v_fma_f64 v[118:119], v[130:131], s[0:1], v[94:95]
	v_fma_f64 v[120:121], v[128:129], s[0:1], v[92:93]
	v_fma_f64 v[122:123], v[130:131], s[0:1], -v[94:95]
	v_add_f64 v[88:89], v[100:101], v[96:97]
	v_add_f64 v[90:91], v[102:103], v[98:99]
	;; [unrolled: 1-line block ×8, first 2 shown]
	ds_write_b128 v252, v[52:55]
	ds_write_b128 v252, v[60:63] offset:16
	ds_write_b128 v252, v[64:67] offset:32
	;; [unrolled: 1-line block ×12, first 2 shown]
	s_waitcnt lgkmcnt(0)
	s_barrier
	ds_read_b128 v[68:71], v249
	ds_read_b128 v[64:67], v249 offset:1872
	ds_read_b128 v[124:127], v249 offset:8112
	;; [unrolled: 1-line block ×11, first 2 shown]
	v_cmp_gt_u16_e64 s[0:1], 39, v255
                                        ; implicit-def: $vgpr140_vgpr141
                                        ; implicit-def: $vgpr148_vgpr149
	s_and_saveexec_b64 s[6:7], s[0:1]
	s_cbranch_execz .LBB0_3
; %bb.2:
	ds_read_b128 v[56:59], v249 offset:7488
	ds_read_b128 v[140:143], v249 offset:15600
	ds_read_b128 v[148:151], v249 offset:23712
.LBB0_3:
	s_or_b64 exec, exec, s[6:7]
	s_movk_i32 s6, 0x15f
	v_add_co_u32_e32 v192, vcc, s6, v255
	s_movk_i32 s6, 0x4f
	v_mul_lo_u16_sdwa v0, v255, s6 dst_sel:DWORD dst_unused:UNUSED_PAD src0_sel:BYTE_0 src1_sel:DWORD
	v_lshrrev_b16_e32 v0, 10, v0
	v_mul_lo_u16_e32 v1, 13, v0
	v_sub_u16_e32 v1, v255, v1
	v_and_b32_e32 v1, 0xff, v1
	v_lshlrev_b32_e32 v2, 5, v1
	v_add_u16_e32 v194, 0x75, v255
	global_load_dwordx4 v[76:79], v2, s[14:15] offset:16
	global_load_dwordx4 v[84:87], v2, s[14:15]
	v_mul_lo_u16_sdwa v2, v194, s6 dst_sel:DWORD dst_unused:UNUSED_PAD src0_sel:BYTE_0 src1_sel:DWORD
	v_lshrrev_b16_e32 v2, 10, v2
	v_mul_lo_u16_e32 v3, 13, v2
	v_sub_u16_e32 v3, v194, v3
	v_and_b32_e32 v3, 0xff, v3
	v_add_co_u32_e32 v193, vcc, 0xea, v255
	v_lshlrev_b32_e32 v4, 5, v3
	s_movk_i32 s6, 0x4ec5
	global_load_dwordx4 v[80:83], v4, s[14:15] offset:16
	global_load_dwordx4 v[92:95], v4, s[14:15]
	v_mul_u32_u24_sdwa v4, v193, s6 dst_sel:DWORD dst_unused:UNUSED_PAD src0_sel:WORD_0 src1_sel:DWORD
	v_lshrrev_b32_e32 v4, 18, v4
	v_mul_lo_u16_e32 v5, 13, v4
	v_sub_u16_e32 v5, v193, v5
	v_add_u16_e32 v195, 0x1d4, v255
	v_lshlrev_b16_e32 v6, 1, v5
	v_mul_u32_u24_e32 v8, 0x4ec5, v195
	v_lshlrev_b32_e32 v6, 4, v6
	v_lshrrev_b32_e32 v8, 18, v8
	global_load_dwordx4 v[88:91], v6, s[14:15] offset:16
	global_load_dwordx4 v[96:99], v6, s[14:15]
	v_mul_u32_u24_sdwa v6, v192, s6 dst_sel:DWORD dst_unused:UNUSED_PAD src0_sel:WORD_0 src1_sel:DWORD
	buffer_store_dword v8, off, s[48:51], 0 offset:160 ; 4-byte Folded Spill
	v_mul_lo_u16_e32 v8, 13, v8
	v_lshrrev_b32_e32 v6, 18, v6
	v_sub_u16_e32 v8, v195, v8
	v_mul_lo_u16_e32 v7, 13, v6
	buffer_store_dword v8, off, s[48:51], 0 offset:164 ; 4-byte Folded Spill
	v_lshlrev_b16_e32 v8, 1, v8
	v_lshlrev_b32_e32 v8, 4, v8
	v_sub_u16_e32 v7, v192, v7
	global_load_dwordx4 v[108:111], v8, s[14:15] offset:16
	global_load_dwordx4 v[112:115], v8, s[14:15]
	v_lshlrev_b16_e32 v8, 1, v7
	v_lshlrev_b32_e32 v8, 4, v8
	global_load_dwordx4 v[144:147], v8, s[14:15]
	global_load_dwordx4 v[120:123], v8, s[14:15] offset:16
	s_mov_b32 s6, 0xe8584caa
	s_mov_b32 s7, 0x3febb67a
	;; [unrolled: 1-line block ×4, first 2 shown]
	v_mul_u32_u24_e32 v0, 39, v0
	v_add_lshl_u32 v0, v0, v1, 4
	s_waitcnt vmcnt(0) lgkmcnt(0)
	s_barrier
	v_mul_f64 v[156:157], v[130:131], v[78:79]
	v_mul_f64 v[152:153], v[126:127], v[86:87]
	;; [unrolled: 1-line block ×4, first 2 shown]
	v_fma_f64 v[128:129], v[128:129], v[76:77], -v[156:157]
	v_fma_f64 v[124:125], v[124:125], v[84:85], -v[152:153]
	v_mul_f64 v[164:165], v[118:119], v[82:83]
	v_mul_f64 v[160:161], v[106:107], v[94:95]
	;; [unrolled: 1-line block ×4, first 2 shown]
	v_fma_f64 v[126:127], v[126:127], v[84:85], v[154:155]
	v_fma_f64 v[130:131], v[130:131], v[76:77], v[158:159]
	v_fma_f64 v[116:117], v[116:117], v[80:81], -v[164:165]
	v_fma_f64 v[104:105], v[104:105], v[92:93], -v[160:161]
	v_mul_f64 v[172:173], v[138:139], v[90:91]
	v_mul_f64 v[168:169], v[134:135], v[98:99]
	;; [unrolled: 1-line block ×4, first 2 shown]
	v_fma_f64 v[106:107], v[106:107], v[92:93], v[162:163]
	v_fma_f64 v[118:119], v[118:119], v[80:81], v[166:167]
	v_add_f64 v[152:153], v[104:105], v[116:117]
	v_fma_f64 v[136:137], v[136:137], v[88:89], -v[172:173]
	v_fma_f64 v[132:133], v[132:133], v[96:97], -v[168:169]
	v_fma_f64 v[134:135], v[134:135], v[96:97], v[170:171]
	v_fma_f64 v[138:139], v[138:139], v[88:89], v[174:175]
	v_mul_f64 v[176:177], v[142:143], v[114:115]
	v_mul_f64 v[178:179], v[140:141], v[114:115]
	;; [unrolled: 1-line block ×6, first 2 shown]
	v_add_f64 v[164:165], v[106:107], -v[118:119]
	v_add_f64 v[166:167], v[66:67], v[106:107]
	v_fma_f64 v[154:155], v[140:141], v[112:113], -v[176:177]
	v_add_f64 v[140:141], v[64:65], v[104:105]
	v_fma_f64 v[156:157], v[72:73], v[144:145], -v[184:185]
	v_fma_f64 v[158:159], v[74:75], v[144:145], v[186:187]
	v_fma_f64 v[160:161], v[100:101], v[120:121], -v[188:189]
	v_fma_f64 v[162:163], v[102:103], v[120:121], v[190:191]
	v_add_f64 v[72:73], v[68:69], v[124:125]
	v_add_f64 v[74:75], v[124:125], v[128:129]
	v_add_f64 v[100:101], v[126:127], -v[130:131]
	v_add_f64 v[102:103], v[70:71], v[126:127]
	v_add_f64 v[126:127], v[126:127], v[130:131]
	v_add_f64 v[124:125], v[124:125], -v[128:129]
	v_add_f64 v[106:107], v[106:107], v[118:119]
	v_add_f64 v[168:169], v[104:105], -v[116:117]
	v_mul_f64 v[180:181], v[150:151], v[110:111]
	v_fma_f64 v[104:105], v[74:75], -0.5, v[68:69]
	v_add_f64 v[68:69], v[72:73], v[128:129]
	v_fma_f64 v[128:129], v[152:153], -0.5, v[64:65]
	v_fma_f64 v[126:127], v[126:127], -0.5, v[70:71]
	v_mul_f64 v[182:183], v[148:149], v[110:111]
	v_add_f64 v[170:171], v[132:133], v[136:137]
	v_add_f64 v[70:71], v[102:103], v[130:131]
	;; [unrolled: 1-line block ×4, first 2 shown]
	v_fma_f64 v[116:117], v[106:107], -0.5, v[66:67]
	v_fma_f64 v[64:65], v[100:101], s[6:7], v[104:105]
	v_fma_f64 v[100:101], v[100:101], s[16:17], v[104:105]
	;; [unrolled: 1-line block ×6, first 2 shown]
	v_add_f64 v[118:119], v[134:135], v[138:139]
	v_add_f64 v[128:129], v[60:61], v[132:133]
	v_fma_f64 v[142:143], v[142:143], v[112:113], v[178:179]
	v_fma_f64 v[148:149], v[148:149], v[108:109], -v[180:181]
	v_fma_f64 v[150:151], v[150:151], v[108:109], v[182:183]
	v_fma_f64 v[130:131], v[170:171], -0.5, v[60:61]
	v_fma_f64 v[106:107], v[168:169], s[16:17], v[116:117]
	v_add_f64 v[152:153], v[156:157], v[160:161]
	v_fma_f64 v[126:127], v[168:169], s[6:7], v[116:117]
	v_add_f64 v[116:117], v[62:63], v[134:135]
	v_fma_f64 v[118:119], v[118:119], -0.5, v[62:63]
	v_add_f64 v[164:165], v[132:133], -v[136:137]
	v_add_f64 v[60:61], v[128:129], v[136:137]
	v_add_f64 v[128:129], v[52:53], v[156:157]
	v_add_f64 v[140:141], v[134:135], -v[138:139]
	v_fma_f64 v[152:153], v[152:153], -0.5, v[52:53]
	v_add_f64 v[166:167], v[158:159], -v[162:163]
	v_add_f64 v[62:63], v[116:117], v[138:139]
	v_add_f64 v[116:117], v[158:159], v[162:163]
	v_fma_f64 v[134:135], v[164:165], s[16:17], v[118:119]
	v_fma_f64 v[138:139], v[164:165], s[6:7], v[118:119]
	v_add_f64 v[52:53], v[128:129], v[160:161]
	v_add_f64 v[118:119], v[154:155], v[148:149]
	;; [unrolled: 1-line block ×3, first 2 shown]
	v_fma_f64 v[132:133], v[140:141], s[6:7], v[130:131]
	v_fma_f64 v[136:137], v[140:141], s[16:17], v[130:131]
	v_add_f64 v[130:131], v[54:55], v[158:159]
	v_fma_f64 v[116:117], v[116:117], -0.5, v[54:55]
	v_add_f64 v[156:157], v[156:157], -v[160:161]
	v_add_f64 v[158:159], v[56:57], v[154:155]
	v_fma_f64 v[56:57], v[118:119], -0.5, v[56:57]
	v_add_f64 v[118:119], v[142:143], -v[150:151]
	;; [unrolled: 3-line block ×3, first 2 shown]
	v_fma_f64 v[140:141], v[166:167], s[6:7], v[152:153]
	v_fma_f64 v[152:153], v[166:167], s[16:17], v[152:153]
	v_add_f64 v[54:55], v[130:131], v[162:163]
	v_fma_f64 v[142:143], v[156:157], s[16:17], v[116:117]
	v_fma_f64 v[154:155], v[156:157], s[6:7], v[116:117]
	v_add_f64 v[116:117], v[158:159], v[148:149]
	;; [unrolled: 3-line block ×3, first 2 shown]
	v_fma_f64 v[130:131], v[164:165], s[16:17], v[58:59]
	v_fma_f64 v[150:151], v[164:165], s[6:7], v[58:59]
	ds_write_b128 v0, v[68:71]
	ds_write_b128 v0, v[64:67] offset:208
	buffer_store_dword v0, off, s[48:51], 0 offset:168 ; 4-byte Folded Spill
	ds_write_b128 v0, v[100:103] offset:416
	v_mul_u32_u24_e32 v0, 39, v2
	v_add_lshl_u32 v0, v0, v3, 4
	ds_write_b128 v0, v[72:75]
	ds_write_b128 v0, v[104:107] offset:208
	buffer_store_dword v0, off, s[48:51], 0 offset:172 ; 4-byte Folded Spill
	ds_write_b128 v0, v[124:127] offset:416
	v_mad_legacy_u16 v0, v4, 39, v5
	v_lshlrev_b32_e32 v0, 4, v0
	ds_write_b128 v0, v[60:63]
	ds_write_b128 v0, v[132:135] offset:208
	buffer_store_dword v0, off, s[48:51], 0 offset:176 ; 4-byte Folded Spill
	ds_write_b128 v0, v[136:139] offset:416
	v_mad_legacy_u16 v0, v6, 39, v7
	v_lshlrev_b32_e32 v0, 4, v0
	ds_write_b128 v0, v[52:55]
	ds_write_b128 v0, v[140:143] offset:208
	buffer_store_dword v0, off, s[48:51], 0 offset:180 ; 4-byte Folded Spill
	ds_write_b128 v0, v[152:155] offset:416
	s_and_saveexec_b64 s[6:7], s[0:1]
	s_cbranch_execz .LBB0_5
; %bb.4:
	buffer_load_dword v0, off, s[48:51], 0 offset:160 ; 4-byte Folded Reload
	buffer_load_dword v1, off, s[48:51], 0 offset:164 ; 4-byte Folded Reload
	s_waitcnt vmcnt(0)
	v_mad_legacy_u16 v0, v0, 39, v1
	v_lshlrev_b32_e32 v0, 4, v0
	ds_write_b128 v0, v[116:119]
	ds_write_b128 v0, v[128:131] offset:208
	ds_write_b128 v0, v[148:151] offset:416
.LBB0_5:
	s_or_b64 exec, exec, s[6:7]
	s_waitcnt vmcnt(0) lgkmcnt(0)
	s_barrier
	ds_read_b128 v[156:159], v249
	ds_read_b128 v[152:155], v249 offset:1872
	ds_read_b128 v[168:171], v249 offset:8112
	;; [unrolled: 1-line block ×11, first 2 shown]
	s_and_saveexec_b64 s[6:7], s[0:1]
	s_cbranch_execz .LBB0_7
; %bb.6:
	ds_read_b128 v[116:119], v249 offset:7488
	ds_read_b128 v[128:131], v249 offset:15600
	;; [unrolled: 1-line block ×3, first 2 shown]
.LBB0_7:
	s_or_b64 exec, exec, s[6:7]
	s_movk_i32 s6, 0xa5
	v_mul_lo_u16_sdwa v0, v255, s6 dst_sel:DWORD dst_unused:UNUSED_PAD src0_sel:BYTE_0 src1_sel:DWORD
	v_sub_u16_sdwa v1, v255, v0 dst_sel:DWORD dst_unused:UNUSED_PAD src0_sel:DWORD src1_sel:BYTE_1
	v_lshrrev_b16_e32 v1, 1, v1
	v_and_b32_e32 v1, 0x7f, v1
	v_add_u16_sdwa v0, v1, v0 dst_sel:DWORD dst_unused:UNUSED_PAD src0_sel:DWORD src1_sel:BYTE_1
	v_lshrrev_b16_e32 v0, 5, v0
	v_and_b32_e32 v0, 7, v0
	v_mul_lo_u16_e32 v1, 39, v0
	v_sub_u16_e32 v1, v255, v1
	v_and_b32_e32 v1, 0xff, v1
	v_lshlrev_b32_e32 v2, 5, v1
	global_load_dwordx4 v[60:63], v2, s[14:15] offset:432
	global_load_dwordx4 v[64:67], v2, s[14:15] offset:416
	v_mul_lo_u16_sdwa v2, v194, s6 dst_sel:DWORD dst_unused:UNUSED_PAD src0_sel:BYTE_0 src1_sel:DWORD
	s_mov_b32 s6, 0xa41b
	v_mul_u32_u24_sdwa v4, v193, s6 dst_sel:DWORD dst_unused:UNUSED_PAD src0_sel:WORD_0 src1_sel:DWORD
	v_sub_u16_sdwa v5, v193, v4 dst_sel:DWORD dst_unused:UNUSED_PAD src0_sel:DWORD src1_sel:WORD_1
	v_lshrrev_b16_e32 v5, 1, v5
	v_mul_u32_u24_e32 v9, 0xa41b, v195
	v_add_u16_sdwa v4, v5, v4 dst_sel:DWORD dst_unused:UNUSED_PAD src0_sel:DWORD src1_sel:WORD_1
	v_sub_u16_sdwa v10, v195, v9 dst_sel:DWORD dst_unused:UNUSED_PAD src0_sel:DWORD src1_sel:WORD_1
	v_lshrrev_b16_e32 v4, 5, v4
	v_lshrrev_b16_e32 v10, 1, v10
	v_mul_lo_u16_e32 v5, 39, v4
	v_add_u16_sdwa v9, v10, v9 dst_sel:DWORD dst_unused:UNUSED_PAD src0_sel:DWORD src1_sel:WORD_1
	v_sub_u16_e32 v5, v193, v5
	v_lshrrev_b16_e32 v9, 5, v9
	v_lshlrev_b16_e32 v6, 5, v5
	v_mul_lo_u16_e32 v9, 39, v9
	v_mov_b32_e32 v7, s15
	v_add_co_u32_e32 v52, vcc, s14, v6
	v_sub_u16_e32 v9, v195, v9
	v_addc_co_u32_e32 v53, vcc, 0, v7, vcc
	v_lshlrev_b16_e32 v10, 5, v9
	v_sub_u16_sdwa v3, v194, v2 dst_sel:DWORD dst_unused:UNUSED_PAD src0_sel:DWORD src1_sel:BYTE_1
	v_mul_u32_u24_sdwa v6, v192, s6 dst_sel:DWORD dst_unused:UNUSED_PAD src0_sel:WORD_0 src1_sel:DWORD
	v_add_co_u32_e32 v56, vcc, s14, v10
	v_lshrrev_b16_e32 v3, 1, v3
	v_sub_u16_sdwa v8, v192, v6 dst_sel:DWORD dst_unused:UNUSED_PAD src0_sel:DWORD src1_sel:WORD_1
	v_addc_co_u32_e32 v57, vcc, 0, v7, vcc
	v_and_b32_e32 v3, 0x7f, v3
	global_load_dwordx4 v[68:71], v[52:53], off offset:432
	global_load_dwordx4 v[72:75], v[52:53], off offset:416
	v_lshrrev_b16_e32 v8, 1, v8
	global_load_dwordx4 v[52:55], v[56:57], off offset:432
	s_nop 0
	global_load_dwordx4 v[56:59], v[56:57], off offset:416
	v_add_u16_sdwa v6, v8, v6 dst_sel:DWORD dst_unused:UNUSED_PAD src0_sel:DWORD src1_sel:WORD_1
	v_add_u16_sdwa v2, v3, v2 dst_sel:DWORD dst_unused:UNUSED_PAD src0_sel:DWORD src1_sel:BYTE_1
	v_lshrrev_b16_e32 v6, 5, v6
	v_lshrrev_b16_e32 v2, 5, v2
	v_mul_lo_u16_e32 v8, 39, v6
	v_and_b32_e32 v2, 7, v2
	v_sub_u16_e32 v8, v192, v8
	v_mul_lo_u16_e32 v3, 39, v2
	v_lshlrev_b16_e32 v10, 5, v8
	v_sub_u16_e32 v3, v194, v3
	v_add_co_u32_e32 v104, vcc, s14, v10
	v_and_b32_e32 v3, 0xff, v3
	v_addc_co_u32_e32 v105, vcc, 0, v7, vcc
	v_lshlrev_b32_e32 v7, 5, v3
	global_load_dwordx4 v[100:103], v[104:105], off offset:432
	s_nop 0
	global_load_dwordx4 v[104:107], v[104:105], off offset:416
	s_nop 0
	global_load_dwordx4 v[136:139], v7, s[14:15] offset:416
	global_load_dwordx4 v[132:135], v7, s[14:15] offset:432
	s_mov_b32 s6, 0xe8584caa
	s_mov_b32 s7, 0x3febb67a
	;; [unrolled: 1-line block ×3, first 2 shown]
	s_waitcnt vmcnt(0) lgkmcnt(0)
	s_barrier
	v_mul_f64 v[220:221], v[174:175], v[62:63]
	v_mul_f64 v[216:217], v[170:171], v[66:67]
	;; [unrolled: 1-line block ×4, first 2 shown]
	v_fma_f64 v[170:171], v[170:171], v[64:65], v[218:219]
	v_mul_f64 v[204:205], v[190:191], v[70:71]
	v_mul_f64 v[200:201], v[186:187], v[74:75]
	;; [unrolled: 1-line block ×8, first 2 shown]
	v_fma_f64 v[188:189], v[188:189], v[68:69], -v[204:205]
	v_fma_f64 v[184:185], v[184:185], v[72:73], -v[200:201]
	;; [unrolled: 1-line block ×3, first 2 shown]
	v_fma_f64 v[192:193], v[130:131], v[56:57], v[194:195]
	v_fma_f64 v[130:131], v[148:149], v[52:53], -v[196:197]
	v_fma_f64 v[148:149], v[150:151], v[52:53], v[198:199]
	v_fma_f64 v[150:151], v[168:169], v[64:65], -v[216:217]
	v_fma_f64 v[168:169], v[172:173], v[60:61], -v[220:221]
	v_fma_f64 v[172:173], v[174:175], v[60:61], v[222:223]
	v_fma_f64 v[186:187], v[186:187], v[72:73], v[202:203]
	v_mul_f64 v[212:213], v[178:179], v[102:103]
	v_mul_f64 v[214:215], v[176:177], v[102:103]
	;; [unrolled: 1-line block ×6, first 2 shown]
	v_add_f64 v[174:175], v[150:151], v[168:169]
	v_add_f64 v[194:195], v[170:171], v[172:173]
	v_fma_f64 v[196:197], v[176:177], v[100:101], -v[212:213]
	v_fma_f64 v[200:201], v[178:179], v[100:101], v[214:215]
	v_fma_f64 v[176:177], v[160:161], v[136:137], -v[224:225]
	v_add_f64 v[160:161], v[156:157], v[150:151]
	v_fma_f64 v[178:179], v[164:165], v[132:133], -v[228:229]
	v_fma_f64 v[198:199], v[162:163], v[136:137], v[226:227]
	v_fma_f64 v[166:167], v[166:167], v[132:133], v[230:231]
	v_add_f64 v[162:163], v[158:159], v[170:171]
	v_mul_f64 v[208:209], v[182:183], v[106:107]
	v_fma_f64 v[190:191], v[190:191], v[68:69], v[206:207]
	v_add_f64 v[164:165], v[170:171], -v[172:173]
	v_fma_f64 v[174:175], v[174:175], -0.5, v[156:157]
	v_add_f64 v[170:171], v[150:151], -v[168:169]
	v_add_f64 v[202:203], v[176:177], v[178:179]
	v_add_f64 v[156:157], v[160:161], v[168:169]
	v_fma_f64 v[168:169], v[194:195], -0.5, v[158:159]
	v_add_f64 v[194:195], v[152:153], v[176:177]
	v_add_f64 v[158:159], v[162:163], v[172:173]
	;; [unrolled: 1-line block ×3, first 2 shown]
	v_mul_f64 v[210:211], v[180:181], v[106:107]
	v_fma_f64 v[180:181], v[180:181], v[104:105], -v[208:209]
	v_fma_f64 v[150:151], v[164:165], s[6:7], v[174:175]
	v_fma_f64 v[160:161], v[164:165], s[16:17], v[174:175]
	v_fma_f64 v[174:175], v[202:203], -0.5, v[152:153]
	v_add_f64 v[202:203], v[198:199], -v[166:167]
	v_fma_f64 v[152:153], v[170:171], s[16:17], v[168:169]
	v_fma_f64 v[162:163], v[170:171], s[6:7], v[168:169]
	v_add_f64 v[164:165], v[194:195], v[178:179]
	v_add_f64 v[170:171], v[184:185], v[188:189]
	;; [unrolled: 1-line block ×3, first 2 shown]
	v_fma_f64 v[154:155], v[172:173], -0.5, v[154:155]
	v_add_f64 v[176:177], v[176:177], -v[178:179]
	v_add_f64 v[178:179], v[186:187], v[190:191]
	v_fma_f64 v[182:183], v[182:183], v[104:105], v[210:211]
	v_fma_f64 v[168:169], v[202:203], s[6:7], v[174:175]
	;; [unrolled: 1-line block ×3, first 2 shown]
	v_add_f64 v[198:199], v[140:141], v[184:185]
	v_fma_f64 v[202:203], v[170:171], -0.5, v[140:141]
	v_add_f64 v[204:205], v[186:187], -v[190:191]
	v_add_f64 v[166:167], v[194:195], v[166:167]
	v_fma_f64 v[170:171], v[176:177], s[16:17], v[154:155]
	v_add_f64 v[186:187], v[142:143], v[186:187]
	v_fma_f64 v[194:195], v[178:179], -0.5, v[142:143]
	v_add_f64 v[184:185], v[184:185], -v[188:189]
	v_fma_f64 v[174:175], v[176:177], s[6:7], v[154:155]
	v_add_f64 v[154:155], v[124:125], v[180:181]
	v_add_f64 v[140:141], v[198:199], v[188:189]
	;; [unrolled: 1-line block ×3, first 2 shown]
	v_fma_f64 v[176:177], v[204:205], s[6:7], v[202:203]
	v_add_f64 v[142:143], v[186:187], v[190:191]
	v_add_f64 v[186:187], v[182:183], v[200:201]
	v_fma_f64 v[178:179], v[184:185], s[16:17], v[194:195]
	v_fma_f64 v[190:191], v[184:185], s[6:7], v[194:195]
	v_add_f64 v[184:185], v[128:129], v[130:131]
	v_add_f64 v[194:195], v[154:155], v[196:197]
	;; [unrolled: 1-line block ×3, first 2 shown]
	v_fma_f64 v[188:189], v[204:205], s[16:17], v[202:203]
	v_fma_f64 v[198:199], v[198:199], -0.5, v[124:125]
	v_add_f64 v[202:203], v[182:183], -v[200:201]
	v_add_f64 v[182:183], v[126:127], v[182:183]
	v_fma_f64 v[186:187], v[186:187], -0.5, v[126:127]
	v_add_f64 v[180:181], v[180:181], -v[196:197]
	v_fma_f64 v[184:185], v[184:185], -0.5, v[116:117]
	v_add_f64 v[204:205], v[192:193], -v[148:149]
	;; [unrolled: 2-line block ×3, first 2 shown]
	v_fma_f64 v[124:125], v[202:203], s[6:7], v[198:199]
	v_add_f64 v[196:197], v[182:183], v[200:201]
	v_fma_f64 v[198:199], v[202:203], s[16:17], v[198:199]
	v_fma_f64 v[126:127], v[180:181], s[16:17], v[186:187]
	;; [unrolled: 1-line block ×6, first 2 shown]
	s_movk_i32 s6, 0x75
	v_mul_u32_u24_sdwa v0, v0, s6 dst_sel:DWORD dst_unused:UNUSED_PAD src0_sel:WORD_0 src1_sel:DWORD
	v_fma_f64 v[182:183], v[206:207], s[16:17], v[154:155]
	v_add_lshl_u32 v0, v0, v1, 4
	ds_write_b128 v0, v[156:159]
	ds_write_b128 v0, v[150:153] offset:624
	buffer_store_dword v0, off, s[48:51], 0 offset:188 ; 4-byte Folded Spill
	ds_write_b128 v0, v[160:163] offset:1248
	v_mul_u32_u24_sdwa v0, v2, s6 dst_sel:DWORD dst_unused:UNUSED_PAD src0_sel:WORD_0 src1_sel:DWORD
	v_add_lshl_u32 v0, v0, v3, 4
	ds_write_b128 v0, v[164:167]
	ds_write_b128 v0, v[168:171] offset:624
	buffer_store_dword v0, off, s[48:51], 0 offset:192 ; 4-byte Folded Spill
	ds_write_b128 v0, v[172:175] offset:1248
	v_mad_legacy_u16 v0, v4, s6, v5
	v_lshlrev_b32_e32 v0, 4, v0
	ds_write_b128 v0, v[140:143]
	ds_write_b128 v0, v[176:179] offset:624
	buffer_store_dword v0, off, s[48:51], 0 offset:196 ; 4-byte Folded Spill
	ds_write_b128 v0, v[188:191] offset:1248
	v_mad_legacy_u16 v0, v6, s6, v8
	v_lshlrev_b32_e32 v0, 4, v0
	ds_write_b128 v0, v[194:197]
	ds_write_b128 v0, v[124:127] offset:624
	buffer_store_dword v0, off, s[48:51], 0 offset:200 ; 4-byte Folded Spill
	ds_write_b128 v0, v[198:201] offset:1248
	v_lshlrev_b32_e32 v0, 4, v9
	buffer_store_dword v0, off, s[48:51], 0 offset:184 ; 4-byte Folded Spill
	s_and_saveexec_b64 s[6:7], s[0:1]
	s_cbranch_execz .LBB0_9
; %bb.8:
	buffer_load_dword v0, off, s[48:51], 0 offset:184 ; 4-byte Folded Reload
	v_add_f64 v[118:119], v[118:119], v[192:193]
	v_add_f64 v[116:117], v[116:117], v[128:129]
	;; [unrolled: 1-line block ×4, first 2 shown]
	s_waitcnt vmcnt(0)
	ds_write_b128 v0, v[180:183] offset:23088
	ds_write_b128 v0, v[116:119] offset:22464
	ds_write_b128 v0, v[184:187] offset:23712
.LBB0_9:
	s_or_b64 exec, exec, s[6:7]
	v_mov_b32_e32 v0, s13
	v_mov_b32_e32 v129, s15
	v_addc_co_u32_e64 v254, vcc, 0, v0, s[2:3]
	s_movk_i32 s2, 0xc0
	v_mov_b32_e32 v128, s14
	v_mad_u64_u32 v[216:217], s[2:3], v255, s2, v[128:129]
	s_waitcnt vmcnt(0) lgkmcnt(0)
	s_barrier
	ds_read_b128 v[192:195], v249
	ds_read_b128 v[116:119], v249 offset:1872
	ds_read_b128 v[124:127], v249 offset:3744
	;; [unrolled: 1-line block ×12, first 2 shown]
	global_load_dwordx4 v[128:131], v[216:217], off offset:1712
	global_load_dwordx4 v[148:151], v[216:217], off offset:1696
	;; [unrolled: 1-line block ×4, first 2 shown]
	s_mov_b32 s20, 0x4267c47c
	s_mov_b32 s21, 0xbfddbe06
	;; [unrolled: 1-line block ×34, first 2 shown]
	s_movk_i32 s33, 0x5f10
	s_waitcnt vmcnt(0) lgkmcnt(11)
	v_mul_f64 v[172:173], v[118:119], v[170:171]
	v_fma_f64 v[245:246], v[116:117], v[168:169], -v[172:173]
	v_mul_f64 v[116:117], v[116:117], v[170:171]
	v_fma_f64 v[247:248], v[118:119], v[168:169], v[116:117]
	s_waitcnt lgkmcnt(10)
	v_mul_f64 v[116:117], v[126:127], v[158:159]
	v_fma_f64 v[228:229], v[124:125], v[156:157], -v[116:117]
	v_mul_f64 v[116:117], v[124:125], v[158:159]
	v_fma_f64 v[230:231], v[126:127], v[156:157], v[116:117]
	s_waitcnt lgkmcnt(9)
	;; [unrolled: 5-line block ×3, first 2 shown]
	v_mul_f64 v[116:117], v[154:155], v[130:131]
	v_fma_f64 v[214:215], v[152:153], v[128:129], -v[116:117]
	v_mul_f64 v[116:117], v[152:153], v[130:131]
	v_fma_f64 v[212:213], v[154:155], v[128:129], v[116:117]
	global_load_dwordx4 v[116:119], v[216:217], off offset:1776
	global_load_dwordx4 v[124:127], v[216:217], off offset:1760
	;; [unrolled: 1-line block ×4, first 2 shown]
	s_waitcnt vmcnt(0) lgkmcnt(7)
	v_mul_f64 v[152:153], v[162:163], v[174:175]
	v_fma_f64 v[208:209], v[160:161], v[172:173], -v[152:153]
	v_mul_f64 v[152:153], v[160:161], v[174:175]
	v_fma_f64 v[204:205], v[162:163], v[172:173], v[152:153]
	s_waitcnt lgkmcnt(6)
	v_mul_f64 v[152:153], v[166:167], v[142:143]
	v_fma_f64 v[200:201], v[164:165], v[140:141], -v[152:153]
	v_mul_f64 v[152:153], v[164:165], v[142:143]
	v_fma_f64 v[196:197], v[166:167], v[140:141], v[152:153]
	s_waitcnt lgkmcnt(5)
	;; [unrolled: 5-line block ×3, first 2 shown]
	v_mul_f64 v[152:153], v[190:191], v[118:119]
	v_fma_f64 v[210:211], v[188:189], v[116:117], -v[152:153]
	v_mul_f64 v[152:153], v[188:189], v[118:119]
	v_fma_f64 v[206:207], v[190:191], v[116:117], v[152:153]
	global_load_dwordx4 v[164:167], v[216:217], off offset:1840
	global_load_dwordx4 v[152:155], v[216:217], off offset:1824
	;; [unrolled: 1-line block ×4, first 2 shown]
	v_add_f64 v[190:191], v[194:195], v[247:248]
	v_add_f64 v[190:191], v[190:191], v[230:231]
	;; [unrolled: 1-line block ×8, first 2 shown]
	s_waitcnt vmcnt(0) lgkmcnt(3)
	v_mul_f64 v[188:189], v[226:227], v[178:179]
	v_fma_f64 v[218:219], v[224:225], v[176:177], -v[188:189]
	v_mul_f64 v[188:189], v[224:225], v[178:179]
	v_fma_f64 v[216:217], v[226:227], v[176:177], v[188:189]
	s_waitcnt lgkmcnt(2)
	v_mul_f64 v[188:189], v[234:235], v[162:163]
	v_add_f64 v[190:191], v[190:191], v[216:217]
	v_fma_f64 v[226:227], v[232:233], v[160:161], -v[188:189]
	v_mul_f64 v[188:189], v[232:233], v[162:163]
	v_fma_f64 v[224:225], v[234:235], v[160:161], v[188:189]
	s_waitcnt lgkmcnt(1)
	v_mul_f64 v[188:189], v[238:239], v[154:155]
	v_add_f64 v[190:191], v[190:191], v[224:225]
	;; [unrolled: 6-line block ×3, first 2 shown]
	v_fma_f64 v[236:237], v[241:242], v[164:165], -v[188:189]
	v_mul_f64 v[188:189], v[241:242], v[166:167]
	v_add_f64 v[38:39], v[230:231], v[234:235]
	v_add_f64 v[250:251], v[245:246], v[236:237]
	v_fma_f64 v[238:239], v[243:244], v[164:165], v[188:189]
	v_add_f64 v[188:189], v[192:193], v[245:246]
	v_add_f64 v[2:3], v[245:246], -v[236:237]
	v_add_f64 v[4:5], v[247:248], -v[238:239]
	v_add_f64 v[188:189], v[188:189], v[228:229]
	v_add_f64 v[0:1], v[247:248], v[238:239]
	v_mul_f64 v[10:11], v[2:3], s[20:21]
	v_mul_f64 v[18:19], v[2:3], s[14:15]
	;; [unrolled: 1-line block ×3, first 2 shown]
	v_add_f64 v[190:191], v[190:191], v[238:239]
	v_mul_f64 v[34:35], v[2:3], s[24:25]
	v_mul_f64 v[6:7], v[4:5], s[20:21]
	v_add_f64 v[188:189], v[188:189], v[222:223]
	v_mul_f64 v[14:15], v[4:5], s[14:15]
	v_mul_f64 v[22:23], v[4:5], s[2:3]
	v_add_f64 v[188:189], v[188:189], v[214:215]
	v_add_f64 v[188:189], v[188:189], v[208:209]
	;; [unrolled: 1-line block ×9, first 2 shown]
	v_fma_f64 v[236:237], v[250:251], s[22:23], -v[6:7]
	v_fma_f64 v[6:7], v[250:251], s[22:23], v[6:7]
	v_add_f64 v[8:9], v[192:193], v[236:237]
	v_fma_f64 v[236:237], v[0:1], s[22:23], v[10:11]
	v_fma_f64 v[10:11], v[0:1], s[22:23], -v[10:11]
	v_add_f64 v[6:7], v[192:193], v[6:7]
	v_add_f64 v[12:13], v[194:195], v[236:237]
	v_fma_f64 v[236:237], v[250:251], s[12:13], -v[14:15]
	v_add_f64 v[10:11], v[194:195], v[10:11]
	v_fma_f64 v[14:15], v[250:251], s[12:13], v[14:15]
	v_add_f64 v[16:17], v[192:193], v[236:237]
	v_fma_f64 v[236:237], v[0:1], s[12:13], v[18:19]
	v_fma_f64 v[18:19], v[0:1], s[12:13], -v[18:19]
	v_add_f64 v[14:15], v[192:193], v[14:15]
	v_add_f64 v[20:21], v[194:195], v[236:237]
	v_fma_f64 v[236:237], v[250:251], s[6:7], -v[22:23]
	v_fma_f64 v[22:23], v[250:251], s[6:7], v[22:23]
	v_add_f64 v[18:19], v[194:195], v[18:19]
	v_add_f64 v[24:25], v[192:193], v[236:237]
	v_fma_f64 v[236:237], v[0:1], s[6:7], v[26:27]
	v_add_f64 v[245:246], v[192:193], v[22:23]
	v_fma_f64 v[22:23], v[0:1], s[6:7], -v[26:27]
	v_add_f64 v[243:244], v[194:195], v[236:237]
	v_mul_f64 v[236:237], v[2:3], s[16:17]
	v_mul_f64 v[2:3], v[2:3], s[28:29]
	v_add_f64 v[247:248], v[194:195], v[22:23]
	v_mul_f64 v[22:23], v[4:5], s[16:17]
	v_fma_f64 v[238:239], v[0:1], s[18:19], v[236:237]
	v_fma_f64 v[30:31], v[0:1], s[18:19], -v[236:237]
	v_fma_f64 v[36:37], v[0:1], s[30:31], v[2:3]
	v_fma_f64 v[26:27], v[250:251], s[18:19], -v[22:23]
	v_fma_f64 v[22:23], v[250:251], s[18:19], v[22:23]
	v_add_f64 v[28:29], v[194:195], v[238:239]
	v_mul_f64 v[238:239], v[4:5], s[24:25]
	v_mul_f64 v[4:5], v[4:5], s[28:29]
	v_add_f64 v[30:31], v[194:195], v[30:31]
	v_add_f64 v[36:37], v[194:195], v[36:37]
	;; [unrolled: 1-line block ×4, first 2 shown]
	v_fma_f64 v[236:237], v[250:251], s[26:27], -v[238:239]
	v_fma_f64 v[238:239], v[250:251], s[26:27], v[238:239]
	v_add_f64 v[32:33], v[192:193], v[236:237]
	v_fma_f64 v[236:237], v[0:1], s[26:27], v[34:35]
	v_fma_f64 v[34:35], v[0:1], s[26:27], -v[34:35]
	v_fma_f64 v[0:1], v[0:1], s[30:31], -v[2:3]
	v_add_f64 v[238:239], v[192:193], v[238:239]
	v_add_f64 v[2:3], v[228:229], v[232:233]
	;; [unrolled: 1-line block ×4, first 2 shown]
	v_fma_f64 v[34:35], v[250:251], s[30:31], -v[4:5]
	v_fma_f64 v[4:5], v[250:251], s[30:31], v[4:5]
	v_add_f64 v[0:1], v[194:195], v[0:1]
	v_add_f64 v[194:195], v[230:231], -v[234:235]
	v_add_f64 v[34:35], v[192:193], v[34:35]
	v_add_f64 v[4:5], v[192:193], v[4:5]
	v_add_f64 v[192:193], v[228:229], -v[232:233]
	v_mul_f64 v[228:229], v[194:195], s[14:15]
	v_mul_f64 v[234:235], v[194:195], s[36:37]
	v_fma_f64 v[230:231], v[2:3], s[12:13], -v[228:229]
	v_fma_f64 v[228:229], v[2:3], s[12:13], v[228:229]
	v_add_f64 v[8:9], v[230:231], v[8:9]
	v_mul_f64 v[230:231], v[192:193], s[14:15]
	v_add_f64 v[6:7], v[228:229], v[6:7]
	v_fma_f64 v[228:229], v[38:39], s[12:13], -v[230:231]
	v_fma_f64 v[232:233], v[38:39], s[12:13], v[230:231]
	v_add_f64 v[10:11], v[228:229], v[10:11]
	v_mul_f64 v[228:229], v[194:195], s[16:17]
	v_add_f64 v[12:13], v[232:233], v[12:13]
	;; [unrolled: 5-line block ×5, first 2 shown]
	v_fma_f64 v[232:233], v[38:39], s[30:31], v[230:231]
	v_fma_f64 v[230:231], v[38:39], s[30:31], -v[230:231]
	v_add_f64 v[232:233], v[232:233], v[243:244]
	v_fma_f64 v[243:244], v[2:3], s[26:27], -v[234:235]
	v_fma_f64 v[234:235], v[2:3], s[26:27], v[234:235]
	v_add_f64 v[230:231], v[230:231], v[247:248]
	v_add_f64 v[26:27], v[243:244], v[26:27]
	v_mul_f64 v[243:244], v[192:193], s[36:37]
	v_add_f64 v[22:23], v[234:235], v[22:23]
	v_fma_f64 v[234:235], v[38:39], s[26:27], -v[243:244]
	v_fma_f64 v[245:246], v[38:39], s[26:27], v[243:244]
	v_add_f64 v[30:31], v[234:235], v[30:31]
	v_mul_f64 v[234:235], v[194:195], s[34:35]
	v_mul_f64 v[194:195], v[194:195], s[38:39]
	v_add_f64 v[28:29], v[245:246], v[28:29]
	v_fma_f64 v[243:244], v[2:3], s[6:7], -v[234:235]
	v_fma_f64 v[234:235], v[2:3], s[6:7], v[234:235]
	v_add_f64 v[32:33], v[243:244], v[32:33]
	v_mul_f64 v[243:244], v[192:193], s[34:35]
	v_add_f64 v[234:235], v[234:235], v[238:239]
	v_mul_f64 v[192:193], v[192:193], s[38:39]
	v_fma_f64 v[238:239], v[38:39], s[6:7], -v[243:244]
	v_fma_f64 v[245:246], v[38:39], s[6:7], v[243:244]
	v_add_f64 v[238:239], v[238:239], v[241:242]
	v_fma_f64 v[241:242], v[2:3], s[22:23], -v[194:195]
	v_fma_f64 v[2:3], v[2:3], s[22:23], v[194:195]
	v_add_f64 v[194:195], v[220:221], -v[224:225]
	v_add_f64 v[236:237], v[245:246], v[236:237]
	v_add_f64 v[34:35], v[241:242], v[34:35]
	;; [unrolled: 1-line block ×3, first 2 shown]
	v_fma_f64 v[4:5], v[38:39], s[22:23], -v[192:193]
	v_fma_f64 v[241:242], v[38:39], s[22:23], v[192:193]
	v_add_f64 v[38:39], v[220:221], v[224:225]
	v_mul_f64 v[220:221], v[194:195], s[2:3]
	v_add_f64 v[192:193], v[222:223], -v[226:227]
	v_add_f64 v[0:1], v[4:5], v[0:1]
	v_add_f64 v[4:5], v[222:223], v[226:227]
	v_mul_f64 v[226:227], v[194:195], s[38:39]
	v_add_f64 v[36:37], v[241:242], v[36:37]
	v_fma_f64 v[222:223], v[4:5], s[6:7], -v[220:221]
	v_fma_f64 v[220:221], v[4:5], s[6:7], v[220:221]
	v_add_f64 v[8:9], v[222:223], v[8:9]
	v_mul_f64 v[222:223], v[192:193], s[2:3]
	v_add_f64 v[6:7], v[220:221], v[6:7]
	v_fma_f64 v[220:221], v[38:39], s[6:7], -v[222:223]
	v_fma_f64 v[224:225], v[38:39], s[6:7], v[222:223]
	;; [unrolled: 5-line block ×5, first 2 shown]
	v_add_f64 v[24:25], v[222:223], v[24:25]
	v_add_f64 v[220:221], v[220:221], v[228:229]
	v_fma_f64 v[228:229], v[4:5], s[22:23], -v[226:227]
	v_fma_f64 v[226:227], v[4:5], s[22:23], v[226:227]
	v_mul_f64 v[222:223], v[192:193], s[40:41]
	v_add_f64 v[26:27], v[228:229], v[26:27]
	v_mul_f64 v[228:229], v[192:193], s[38:39]
	v_add_f64 v[22:23], v[226:227], v[22:23]
	v_fma_f64 v[224:225], v[38:39], s[18:19], v[222:223]
	v_fma_f64 v[222:223], v[38:39], s[18:19], -v[222:223]
	v_fma_f64 v[226:227], v[38:39], s[22:23], -v[228:229]
	v_add_f64 v[224:225], v[224:225], v[232:233]
	v_add_f64 v[222:223], v[222:223], v[230:231]
	v_fma_f64 v[230:231], v[38:39], s[22:23], v[228:229]
	v_add_f64 v[30:31], v[226:227], v[30:31]
	v_mul_f64 v[226:227], v[194:195], s[14:15]
	v_mul_f64 v[194:195], v[194:195], s[24:25]
	v_add_f64 v[28:29], v[230:231], v[28:29]
	v_fma_f64 v[228:229], v[4:5], s[12:13], -v[226:227]
	v_fma_f64 v[226:227], v[4:5], s[12:13], v[226:227]
	v_fma_f64 v[232:233], v[4:5], s[26:27], -v[194:195]
	v_fma_f64 v[4:5], v[4:5], s[26:27], v[194:195]
	v_add_f64 v[194:195], v[212:213], -v[216:217]
	v_add_f64 v[32:33], v[228:229], v[32:33]
	v_mul_f64 v[228:229], v[192:193], s[14:15]
	v_mul_f64 v[192:193], v[192:193], s[24:25]
	v_add_f64 v[2:3], v[4:5], v[2:3]
	v_add_f64 v[34:35], v[232:233], v[34:35]
	;; [unrolled: 1-line block ×3, first 2 shown]
	v_add_f64 v[234:235], v[200:201], -v[202:203]
	v_fma_f64 v[230:231], v[38:39], s[12:13], v[228:229]
	v_fma_f64 v[4:5], v[38:39], s[26:27], -v[192:193]
	v_fma_f64 v[228:229], v[38:39], s[12:13], -v[228:229]
	v_fma_f64 v[232:233], v[38:39], s[26:27], v[192:193]
	v_add_f64 v[38:39], v[212:213], v[216:217]
	v_mul_f64 v[212:213], v[194:195], s[16:17]
	v_add_f64 v[192:193], v[214:215], -v[218:219]
	v_add_f64 v[230:231], v[230:231], v[236:237]
	v_add_f64 v[0:1], v[4:5], v[0:1]
	;; [unrolled: 1-line block ×3, first 2 shown]
	v_mul_f64 v[218:219], v[194:195], s[2:3]
	v_add_f64 v[228:229], v[228:229], v[238:239]
	v_add_f64 v[36:37], v[232:233], v[36:37]
	v_add_f64 v[232:233], v[196:197], -v[198:199]
	v_fma_f64 v[214:215], v[4:5], s[18:19], -v[212:213]
	v_fma_f64 v[212:213], v[4:5], s[18:19], v[212:213]
	v_add_f64 v[8:9], v[214:215], v[8:9]
	v_mul_f64 v[214:215], v[192:193], s[16:17]
	v_add_f64 v[6:7], v[212:213], v[6:7]
	v_fma_f64 v[212:213], v[38:39], s[18:19], -v[214:215]
	v_fma_f64 v[216:217], v[38:39], s[18:19], v[214:215]
	v_add_f64 v[10:11], v[212:213], v[10:11]
	v_mul_f64 v[212:213], v[194:195], s[36:37]
	v_add_f64 v[12:13], v[216:217], v[12:13]
	v_fma_f64 v[214:215], v[4:5], s[26:27], -v[212:213]
	v_fma_f64 v[212:213], v[4:5], s[26:27], v[212:213]
	v_add_f64 v[16:17], v[214:215], v[16:17]
	v_mul_f64 v[214:215], v[192:193], s[36:37]
	v_add_f64 v[14:15], v[212:213], v[14:15]
	v_fma_f64 v[212:213], v[38:39], s[26:27], -v[214:215]
	v_fma_f64 v[216:217], v[38:39], s[26:27], v[214:215]
	v_add_f64 v[18:19], v[212:213], v[18:19]
	v_mul_f64 v[212:213], v[194:195], s[38:39]
	v_add_f64 v[20:21], v[216:217], v[20:21]
	v_fma_f64 v[214:215], v[4:5], s[22:23], -v[212:213]
	v_fma_f64 v[212:213], v[4:5], s[22:23], v[212:213]
	v_add_f64 v[24:25], v[214:215], v[24:25]
	v_add_f64 v[212:213], v[212:213], v[220:221]
	v_fma_f64 v[220:221], v[4:5], s[6:7], -v[218:219]
	v_fma_f64 v[218:219], v[4:5], s[6:7], v[218:219]
	v_mul_f64 v[214:215], v[192:193], s[38:39]
	v_add_f64 v[26:27], v[220:221], v[26:27]
	v_mul_f64 v[220:221], v[192:193], s[2:3]
	v_add_f64 v[22:23], v[218:219], v[22:23]
	v_fma_f64 v[216:217], v[38:39], s[22:23], v[214:215]
	v_fma_f64 v[214:215], v[38:39], s[22:23], -v[214:215]
	v_fma_f64 v[218:219], v[38:39], s[6:7], -v[220:221]
	v_add_f64 v[216:217], v[216:217], v[224:225]
	v_add_f64 v[214:215], v[214:215], v[222:223]
	v_fma_f64 v[222:223], v[38:39], s[6:7], v[220:221]
	v_add_f64 v[30:31], v[218:219], v[30:31]
	v_mul_f64 v[218:219], v[194:195], s[44:45]
	v_mul_f64 v[194:195], v[194:195], s[42:43]
	v_add_f64 v[28:29], v[222:223], v[28:29]
	v_fma_f64 v[220:221], v[4:5], s[30:31], -v[218:219]
	v_fma_f64 v[218:219], v[4:5], s[30:31], v[218:219]
	v_fma_f64 v[224:225], v[4:5], s[12:13], -v[194:195]
	v_fma_f64 v[4:5], v[4:5], s[12:13], v[194:195]
	v_add_f64 v[194:195], v[204:205], -v[206:207]
	v_add_f64 v[32:33], v[220:221], v[32:33]
	v_mul_f64 v[220:221], v[192:193], s[44:45]
	v_mul_f64 v[192:193], v[192:193], s[42:43]
	v_add_f64 v[2:3], v[4:5], v[2:3]
	v_add_f64 v[34:35], v[224:225], v[34:35]
	;; [unrolled: 1-line block ×3, first 2 shown]
	v_fma_f64 v[222:223], v[38:39], s[30:31], v[220:221]
	v_fma_f64 v[4:5], v[38:39], s[12:13], -v[192:193]
	v_fma_f64 v[220:221], v[38:39], s[30:31], -v[220:221]
	v_fma_f64 v[224:225], v[38:39], s[12:13], v[192:193]
	v_add_f64 v[38:39], v[204:205], v[206:207]
	v_mul_f64 v[204:205], v[194:195], s[24:25]
	v_add_f64 v[192:193], v[208:209], -v[210:211]
	v_add_f64 v[222:223], v[222:223], v[230:231]
	v_add_f64 v[0:1], v[4:5], v[0:1]
	;; [unrolled: 1-line block ×5, first 2 shown]
	v_fma_f64 v[206:207], v[4:5], s[26:27], -v[204:205]
	v_fma_f64 v[204:205], v[4:5], s[26:27], v[204:205]
	v_add_f64 v[8:9], v[206:207], v[8:9]
	v_mul_f64 v[206:207], v[192:193], s[24:25]
	v_add_f64 v[6:7], v[204:205], v[6:7]
	v_fma_f64 v[204:205], v[38:39], s[26:27], -v[206:207]
	v_fma_f64 v[208:209], v[38:39], s[26:27], v[206:207]
	v_add_f64 v[10:11], v[204:205], v[10:11]
	v_mul_f64 v[204:205], v[194:195], s[34:35]
	v_add_f64 v[12:13], v[208:209], v[12:13]
	;; [unrolled: 5-line block ×7, first 2 shown]
	v_fma_f64 v[204:205], v[38:39], s[30:31], -v[206:207]
	v_fma_f64 v[208:209], v[38:39], s[30:31], v[206:207]
	v_add_f64 v[30:31], v[204:205], v[30:31]
	v_mul_f64 v[204:205], v[194:195], s[38:39]
	v_mul_f64 v[194:195], v[194:195], s[16:17]
	v_add_f64 v[28:29], v[208:209], v[28:29]
	v_fma_f64 v[206:207], v[4:5], s[22:23], -v[204:205]
	v_fma_f64 v[204:205], v[4:5], s[22:23], v[204:205]
	v_add_f64 v[32:33], v[206:207], v[32:33]
	v_mul_f64 v[206:207], v[192:193], s[38:39]
	v_add_f64 v[228:229], v[204:205], v[218:219]
	v_mul_f64 v[192:193], v[192:193], s[16:17]
	v_fma_f64 v[204:205], v[38:39], s[22:23], -v[206:207]
	v_fma_f64 v[208:209], v[38:39], s[22:23], v[206:207]
	v_add_f64 v[230:231], v[204:205], v[220:221]
	v_fma_f64 v[204:205], v[4:5], s[18:19], -v[194:195]
	v_fma_f64 v[4:5], v[4:5], s[18:19], v[194:195]
	v_add_f64 v[226:227], v[208:209], v[222:223]
	v_add_f64 v[34:35], v[204:205], v[34:35]
	v_add_f64 v[2:3], v[4:5], v[2:3]
	v_fma_f64 v[4:5], v[38:39], s[18:19], -v[192:193]
	v_fma_f64 v[204:205], v[38:39], s[18:19], v[192:193]
	v_add_f64 v[38:39], v[196:197], v[198:199]
	v_mul_f64 v[196:197], v[232:233], s[28:29]
	v_add_f64 v[0:1], v[4:5], v[0:1]
	v_add_f64 v[4:5], v[200:201], v[202:203]
	;; [unrolled: 1-line block ×3, first 2 shown]
	v_fma_f64 v[192:193], v[4:5], s[30:31], -v[196:197]
	v_add_f64 v[192:193], v[192:193], v[8:9]
	v_mul_f64 v[8:9], v[234:235], s[28:29]
	v_fma_f64 v[194:195], v[38:39], s[30:31], v[8:9]
	v_add_f64 v[194:195], v[194:195], v[12:13]
	v_fma_f64 v[12:13], v[4:5], s[30:31], v[196:197]
	v_add_f64 v[196:197], v[12:13], v[6:7]
	v_fma_f64 v[6:7], v[38:39], s[30:31], -v[8:9]
	v_add_f64 v[198:199], v[6:7], v[10:11]
	v_mul_f64 v[6:7], v[232:233], s[38:39]
	v_fma_f64 v[8:9], v[4:5], s[22:23], -v[6:7]
	v_fma_f64 v[6:7], v[4:5], s[22:23], v[6:7]
	v_add_f64 v[200:201], v[8:9], v[16:17]
	v_mul_f64 v[8:9], v[234:235], s[38:39]
	v_add_f64 v[204:205], v[6:7], v[14:15]
	v_fma_f64 v[6:7], v[38:39], s[22:23], -v[8:9]
	v_fma_f64 v[10:11], v[38:39], s[22:23], v[8:9]
	v_add_f64 v[206:207], v[6:7], v[18:19]
	v_mul_f64 v[6:7], v[232:233], s[24:25]
	v_add_f64 v[202:203], v[10:11], v[20:21]
	;; [unrolled: 5-line block ×9, first 2 shown]
	v_fma_f64 v[2:3], v[38:39], s[6:7], -v[8:9]
	v_fma_f64 v[10:11], v[38:39], s[6:7], v[8:9]
	v_add_f64 v[238:239], v[2:3], v[0:1]
	v_add_co_u32_e32 v0, vcc, s33, v253
	v_addc_co_u32_e32 v1, vcc, 0, v254, vcc
	s_movk_i32 s33, 0x5000
	v_add_f64 v[234:235], v[10:11], v[36:37]
	v_add_co_u32_e32 v2, vcc, s33, v253
	v_addc_co_u32_e32 v3, vcc, 0, v254, vcc
	ds_write_b128 v249, v[188:191]
	ds_write_b128 v249, v[192:195] offset:1872
	ds_write_b128 v249, v[200:203] offset:3744
	;; [unrolled: 1-line block ×12, first 2 shown]
	s_waitcnt lgkmcnt(0)
	s_barrier
	global_load_dwordx4 v[192:195], v[2:3], off offset:3856
	ds_read_b128 v[188:191], v249
	s_movk_i32 s33, 0x7000
	s_waitcnt vmcnt(0) lgkmcnt(0)
	v_mul_f64 v[2:3], v[190:191], v[194:195]
	v_fma_f64 v[196:197], v[188:189], v[192:193], -v[2:3]
	v_mul_f64 v[2:3], v[188:189], v[194:195]
	v_fma_f64 v[198:199], v[190:191], v[192:193], v[2:3]
	global_load_dwordx4 v[192:195], v[0:1], off offset:1872
	ds_read_b128 v[188:191], v249 offset:1872
	ds_write_b128 v249, v[196:199]
	s_waitcnt vmcnt(0) lgkmcnt(1)
	v_mul_f64 v[2:3], v[190:191], v[194:195]
	v_fma_f64 v[196:197], v[188:189], v[192:193], -v[2:3]
	v_mul_f64 v[2:3], v[188:189], v[194:195]
	v_fma_f64 v[198:199], v[190:191], v[192:193], v[2:3]
	global_load_dwordx4 v[192:195], v[0:1], off offset:3744
	ds_read_b128 v[188:191], v249 offset:3744
	ds_write_b128 v249, v[196:199] offset:1872
	s_waitcnt vmcnt(0) lgkmcnt(1)
	v_mul_f64 v[0:1], v[190:191], v[194:195]
	v_fma_f64 v[196:197], v[188:189], v[192:193], -v[0:1]
	v_mul_f64 v[0:1], v[188:189], v[194:195]
	v_fma_f64 v[198:199], v[190:191], v[192:193], v[0:1]
	v_add_co_u32_e32 v0, vcc, s33, v253
	v_addc_co_u32_e32 v1, vcc, 0, v254, vcc
	global_load_dwordx4 v[192:195], v[0:1], off offset:1280
	ds_read_b128 v[188:191], v249 offset:5616
	s_mov_b32 s33, 0x8000
	ds_write_b128 v249, v[196:199] offset:3744
	s_waitcnt vmcnt(0) lgkmcnt(1)
	v_mul_f64 v[2:3], v[190:191], v[194:195]
	v_fma_f64 v[196:197], v[188:189], v[192:193], -v[2:3]
	v_mul_f64 v[2:3], v[188:189], v[194:195]
	v_fma_f64 v[198:199], v[190:191], v[192:193], v[2:3]
	global_load_dwordx4 v[192:195], v[0:1], off offset:3152
	ds_read_b128 v[188:191], v249 offset:7488
	ds_write_b128 v249, v[196:199] offset:5616
	s_waitcnt vmcnt(0) lgkmcnt(1)
	v_mul_f64 v[0:1], v[190:191], v[194:195]
	v_fma_f64 v[196:197], v[188:189], v[192:193], -v[0:1]
	v_mul_f64 v[0:1], v[188:189], v[194:195]
	v_fma_f64 v[198:199], v[190:191], v[192:193], v[0:1]
	v_add_co_u32_e32 v0, vcc, s33, v253
	v_addc_co_u32_e32 v1, vcc, 0, v254, vcc
	global_load_dwordx4 v[192:195], v[0:1], off offset:928
	ds_read_b128 v[188:191], v249 offset:9360
	s_mov_b32 s33, 0x9000
	ds_write_b128 v249, v[196:199] offset:7488
	;; [unrolled: 19-line block ×4, first 2 shown]
	s_waitcnt vmcnt(0) lgkmcnt(1)
	v_mul_f64 v[2:3], v[190:191], v[194:195]
	v_fma_f64 v[196:197], v[188:189], v[192:193], -v[2:3]
	v_mul_f64 v[2:3], v[188:189], v[194:195]
	v_fma_f64 v[198:199], v[190:191], v[192:193], v[2:3]
	global_load_dwordx4 v[192:195], v[0:1], off offset:2096
	ds_read_b128 v[188:191], v249 offset:18720
	ds_write_b128 v249, v[196:199] offset:16848
	s_waitcnt vmcnt(0) lgkmcnt(1)
	v_mul_f64 v[2:3], v[190:191], v[194:195]
	v_fma_f64 v[196:197], v[188:189], v[192:193], -v[2:3]
	v_mul_f64 v[2:3], v[188:189], v[194:195]
	v_fma_f64 v[198:199], v[190:191], v[192:193], v[2:3]
	global_load_dwordx4 v[192:195], v[0:1], off offset:3968
	ds_read_b128 v[188:191], v249 offset:20592
	ds_write_b128 v249, v[196:199] offset:18720
	s_waitcnt vmcnt(0) lgkmcnt(1)
	v_mul_f64 v[0:1], v[190:191], v[194:195]
	v_fma_f64 v[196:197], v[188:189], v[192:193], -v[0:1]
	v_mul_f64 v[0:1], v[188:189], v[194:195]
	v_fma_f64 v[198:199], v[190:191], v[192:193], v[0:1]
	v_add_co_u32_e32 v0, vcc, s33, v253
	v_addc_co_u32_e32 v1, vcc, 0, v254, vcc
	global_load_dwordx4 v[192:195], v[0:1], off offset:1744
	ds_read_b128 v[188:191], v249 offset:22464
	ds_write_b128 v249, v[196:199] offset:20592
	s_waitcnt vmcnt(0) lgkmcnt(1)
	v_mul_f64 v[0:1], v[190:191], v[194:195]
	v_fma_f64 v[196:197], v[188:189], v[192:193], -v[0:1]
	v_mul_f64 v[0:1], v[188:189], v[194:195]
	v_fma_f64 v[198:199], v[190:191], v[192:193], v[0:1]
	ds_write_b128 v249, v[196:199] offset:22464
	s_waitcnt lgkmcnt(0)
	s_barrier
	ds_read_b128 v[224:227], v249
	ds_read_b128 v[228:231], v249 offset:1872
	ds_read_b128 v[232:235], v249 offset:3744
	;; [unrolled: 1-line block ×12, first 2 shown]
	s_waitcnt lgkmcnt(11)
	v_add_f64 v[2:3], v[226:227], v[230:231]
	v_add_f64 v[0:1], v[224:225], v[228:229]
	s_waitcnt lgkmcnt(0)
	s_barrier
	v_add_f64 v[4:5], v[228:229], -v[241:242]
	v_add_f64 v[6:7], v[230:231], -v[243:244]
	v_add_f64 v[2:3], v[2:3], v[234:235]
	v_add_f64 v[0:1], v[0:1], v[232:233]
	v_mul_f64 v[8:9], v[6:7], s[20:21]
	v_mul_f64 v[16:17], v[6:7], s[14:15]
	;; [unrolled: 1-line block ×3, first 2 shown]
	v_add_f64 v[2:3], v[2:3], v[218:219]
	v_add_f64 v[0:1], v[0:1], v[216:217]
	v_mul_f64 v[32:33], v[6:7], s[16:17]
	v_add_f64 v[2:3], v[2:3], v[210:211]
	v_add_f64 v[0:1], v[0:1], v[208:209]
	;; [unrolled: 1-line block ×20, first 2 shown]
	v_mul_f64 v[228:229], v[6:7], s[24:25]
	v_mul_f64 v[6:7], v[6:7], s[28:29]
	;; [unrolled: 1-line block ×8, first 2 shown]
	v_fma_f64 v[10:11], v[0:1], s[22:23], v[8:9]
	v_fma_f64 v[8:9], v[0:1], s[22:23], -v[8:9]
	v_fma_f64 v[14:15], v[4:5], s[38:39], v[12:13]
	v_fma_f64 v[12:13], v[4:5], s[20:21], v[12:13]
	;; [unrolled: 1-line block ×12, first 2 shown]
	v_add_f64 v[14:15], v[226:227], v[14:15]
	v_add_f64 v[12:13], v[226:227], v[12:13]
	v_fma_f64 v[18:19], v[0:1], s[12:13], v[16:17]
	v_add_f64 v[22:23], v[226:227], v[22:23]
	v_fma_f64 v[16:17], v[0:1], s[12:13], -v[16:17]
	v_add_f64 v[20:21], v[226:227], v[20:21]
	v_fma_f64 v[26:27], v[0:1], s[6:7], v[24:25]
	v_add_f64 v[30:31], v[226:227], v[30:31]
	v_fma_f64 v[24:25], v[0:1], s[6:7], -v[24:25]
	;; [unrolled: 4-line block ×5, first 2 shown]
	v_add_f64 v[2:3], v[226:227], v[2:3]
	v_add_f64 v[226:227], v[234:235], -v[238:239]
	v_add_f64 v[10:11], v[224:225], v[10:11]
	v_add_f64 v[8:9], v[224:225], v[8:9]
	;; [unrolled: 1-line block ×13, first 2 shown]
	v_add_f64 v[224:225], v[232:233], -v[236:237]
	v_mul_f64 v[232:233], v[226:227], s[14:15]
	v_add_f64 v[6:7], v[234:235], v[238:239]
	v_fma_f64 v[234:235], v[4:5], s[12:13], v[232:233]
	v_fma_f64 v[232:233], v[4:5], s[12:13], -v[232:233]
	v_add_f64 v[10:11], v[234:235], v[10:11]
	v_mul_f64 v[234:235], v[6:7], s[12:13]
	v_add_f64 v[8:9], v[232:233], v[8:9]
	v_fma_f64 v[232:233], v[224:225], s[14:15], v[234:235]
	v_fma_f64 v[236:237], v[224:225], s[42:43], v[234:235]
	v_add_f64 v[12:13], v[232:233], v[12:13]
	v_mul_f64 v[232:233], v[226:227], s[16:17]
	v_add_f64 v[14:15], v[236:237], v[14:15]
	v_fma_f64 v[234:235], v[4:5], s[18:19], v[232:233]
	v_fma_f64 v[232:233], v[4:5], s[18:19], -v[232:233]
	v_add_f64 v[18:19], v[234:235], v[18:19]
	v_mul_f64 v[234:235], v[6:7], s[18:19]
	v_add_f64 v[16:17], v[232:233], v[16:17]
	v_fma_f64 v[232:233], v[224:225], s[16:17], v[234:235]
	v_fma_f64 v[236:237], v[224:225], s[40:41], v[234:235]
	v_add_f64 v[20:21], v[232:233], v[20:21]
	;; [unrolled: 10-line block ×4, first 2 shown]
	v_mul_f64 v[232:233], v[226:227], s[34:35]
	v_mul_f64 v[226:227], v[226:227], s[38:39]
	v_add_f64 v[38:39], v[236:237], v[38:39]
	v_fma_f64 v[234:235], v[4:5], s[6:7], v[232:233]
	v_fma_f64 v[232:233], v[4:5], s[6:7], -v[232:233]
	v_add_f64 v[230:231], v[234:235], v[230:231]
	v_mul_f64 v[234:235], v[6:7], s[6:7]
	v_add_f64 v[228:229], v[232:233], v[228:229]
	v_mul_f64 v[6:7], v[6:7], s[22:23]
	v_fma_f64 v[236:237], v[224:225], s[2:3], v[234:235]
	v_fma_f64 v[232:233], v[224:225], s[34:35], v[234:235]
	;; [unrolled: 1-line block ×3, first 2 shown]
	v_fma_f64 v[4:5], v[4:5], s[22:23], -v[226:227]
	v_fma_f64 v[238:239], v[224:225], s[20:21], v[6:7]
	v_add_f64 v[236:237], v[236:237], v[243:244]
	v_add_f64 v[232:233], v[232:233], v[241:242]
	;; [unrolled: 1-line block ×4, first 2 shown]
	v_fma_f64 v[4:5], v[224:225], s[38:39], v[6:7]
	v_add_f64 v[6:7], v[218:219], v[222:223]
	v_add_f64 v[218:219], v[218:219], -v[222:223]
	v_add_f64 v[238:239], v[238:239], v[247:248]
	v_add_f64 v[2:3], v[4:5], v[2:3]
	;; [unrolled: 1-line block ×3, first 2 shown]
	v_add_f64 v[216:217], v[216:217], -v[220:221]
	v_mul_f64 v[220:221], v[218:219], s[2:3]
	v_fma_f64 v[222:223], v[4:5], s[6:7], v[220:221]
	v_fma_f64 v[220:221], v[4:5], s[6:7], -v[220:221]
	v_add_f64 v[10:11], v[222:223], v[10:11]
	v_mul_f64 v[222:223], v[6:7], s[6:7]
	v_add_f64 v[8:9], v[220:221], v[8:9]
	v_fma_f64 v[220:221], v[216:217], s[2:3], v[222:223]
	v_fma_f64 v[224:225], v[216:217], s[34:35], v[222:223]
	v_add_f64 v[12:13], v[220:221], v[12:13]
	v_mul_f64 v[220:221], v[218:219], s[28:29]
	v_add_f64 v[14:15], v[224:225], v[14:15]
	v_fma_f64 v[222:223], v[4:5], s[30:31], v[220:221]
	v_fma_f64 v[220:221], v[4:5], s[30:31], -v[220:221]
	v_add_f64 v[18:19], v[222:223], v[18:19]
	v_mul_f64 v[222:223], v[6:7], s[30:31]
	v_add_f64 v[16:17], v[220:221], v[16:17]
	v_fma_f64 v[220:221], v[216:217], s[28:29], v[222:223]
	v_fma_f64 v[224:225], v[216:217], s[44:45], v[222:223]
	v_add_f64 v[20:21], v[220:221], v[20:21]
	v_mul_f64 v[220:221], v[218:219], s[40:41]
	v_add_f64 v[22:23], v[224:225], v[22:23]
	;; [unrolled: 10-line block ×3, first 2 shown]
	v_fma_f64 v[222:223], v[4:5], s[22:23], v[220:221]
	v_fma_f64 v[220:221], v[4:5], s[22:23], -v[220:221]
	v_add_f64 v[34:35], v[222:223], v[34:35]
	v_mul_f64 v[222:223], v[6:7], s[22:23]
	v_add_f64 v[32:33], v[220:221], v[32:33]
	v_fma_f64 v[220:221], v[216:217], s[38:39], v[222:223]
	v_fma_f64 v[224:225], v[216:217], s[20:21], v[222:223]
	v_add_f64 v[36:37], v[220:221], v[36:37]
	v_mul_f64 v[220:221], v[218:219], s[14:15]
	v_mul_f64 v[218:219], v[218:219], s[24:25]
	v_add_f64 v[38:39], v[224:225], v[38:39]
	v_mul_f64 v[224:225], v[6:7], s[12:13]
	v_mul_f64 v[6:7], v[6:7], s[26:27]
	v_fma_f64 v[222:223], v[4:5], s[12:13], v[220:221]
	v_fma_f64 v[220:221], v[4:5], s[12:13], -v[220:221]
	v_fma_f64 v[226:227], v[216:217], s[42:43], v[224:225]
	v_fma_f64 v[224:225], v[216:217], s[14:15], v[224:225]
	v_add_f64 v[222:223], v[222:223], v[230:231]
	v_add_f64 v[220:221], v[220:221], v[228:229]
	v_fma_f64 v[228:229], v[4:5], s[26:27], v[218:219]
	v_fma_f64 v[4:5], v[4:5], s[26:27], -v[218:219]
	v_fma_f64 v[230:231], v[216:217], s[36:37], v[6:7]
	v_add_f64 v[224:225], v[224:225], v[232:233]
	v_add_f64 v[226:227], v[226:227], v[236:237]
	v_add_f64 v[236:237], v[194:195], -v[198:199]
	v_add_f64 v[228:229], v[228:229], v[234:235]
	v_add_f64 v[0:1], v[4:5], v[0:1]
	v_fma_f64 v[4:5], v[216:217], s[24:25], v[6:7]
	v_add_f64 v[6:7], v[210:211], v[214:215]
	v_add_f64 v[210:211], v[210:211], -v[214:215]
	v_add_f64 v[230:231], v[230:231], v[238:239]
	v_add_f64 v[238:239], v[192:193], -v[196:197]
	v_add_f64 v[2:3], v[4:5], v[2:3]
	v_add_f64 v[4:5], v[208:209], v[212:213]
	v_add_f64 v[208:209], v[208:209], -v[212:213]
	v_mul_f64 v[212:213], v[210:211], s[16:17]
	v_fma_f64 v[214:215], v[4:5], s[18:19], v[212:213]
	v_fma_f64 v[212:213], v[4:5], s[18:19], -v[212:213]
	v_add_f64 v[10:11], v[214:215], v[10:11]
	v_mul_f64 v[214:215], v[6:7], s[18:19]
	v_add_f64 v[8:9], v[212:213], v[8:9]
	v_fma_f64 v[212:213], v[208:209], s[16:17], v[214:215]
	v_fma_f64 v[216:217], v[208:209], s[40:41], v[214:215]
	v_add_f64 v[12:13], v[212:213], v[12:13]
	v_mul_f64 v[212:213], v[210:211], s[36:37]
	v_add_f64 v[14:15], v[216:217], v[14:15]
	v_fma_f64 v[214:215], v[4:5], s[26:27], v[212:213]
	v_fma_f64 v[212:213], v[4:5], s[26:27], -v[212:213]
	v_add_f64 v[18:19], v[214:215], v[18:19]
	v_mul_f64 v[214:215], v[6:7], s[26:27]
	v_add_f64 v[16:17], v[212:213], v[16:17]
	v_fma_f64 v[212:213], v[208:209], s[36:37], v[214:215]
	v_fma_f64 v[216:217], v[208:209], s[24:25], v[214:215]
	v_add_f64 v[20:21], v[212:213], v[20:21]
	v_mul_f64 v[212:213], v[210:211], s[38:39]
	v_add_f64 v[22:23], v[216:217], v[22:23]
	;; [unrolled: 10-line block ×3, first 2 shown]
	v_fma_f64 v[214:215], v[4:5], s[6:7], v[212:213]
	v_fma_f64 v[212:213], v[4:5], s[6:7], -v[212:213]
	v_add_f64 v[34:35], v[214:215], v[34:35]
	v_mul_f64 v[214:215], v[6:7], s[6:7]
	v_add_f64 v[32:33], v[212:213], v[32:33]
	v_fma_f64 v[212:213], v[208:209], s[2:3], v[214:215]
	v_fma_f64 v[216:217], v[208:209], s[34:35], v[214:215]
	v_add_f64 v[36:37], v[212:213], v[36:37]
	v_mul_f64 v[212:213], v[210:211], s[44:45]
	v_mul_f64 v[210:211], v[210:211], s[42:43]
	v_add_f64 v[38:39], v[216:217], v[38:39]
	v_mul_f64 v[216:217], v[6:7], s[30:31]
	v_mul_f64 v[6:7], v[6:7], s[12:13]
	v_fma_f64 v[214:215], v[4:5], s[30:31], v[212:213]
	v_fma_f64 v[212:213], v[4:5], s[30:31], -v[212:213]
	v_fma_f64 v[218:219], v[208:209], s[28:29], v[216:217]
	v_fma_f64 v[216:217], v[208:209], s[44:45], v[216:217]
	v_add_f64 v[214:215], v[214:215], v[222:223]
	v_add_f64 v[212:213], v[212:213], v[220:221]
	v_fma_f64 v[220:221], v[4:5], s[12:13], v[210:211]
	v_fma_f64 v[4:5], v[4:5], s[12:13], -v[210:211]
	v_fma_f64 v[222:223], v[208:209], s[14:15], v[6:7]
	v_add_f64 v[216:217], v[216:217], v[224:225]
	v_add_f64 v[218:219], v[218:219], v[226:227]
	;; [unrolled: 1-line block ×4, first 2 shown]
	v_fma_f64 v[4:5], v[208:209], s[42:43], v[6:7]
	v_add_f64 v[6:7], v[202:203], v[206:207]
	v_add_f64 v[202:203], v[202:203], -v[206:207]
	v_add_f64 v[222:223], v[222:223], v[230:231]
	v_add_f64 v[2:3], v[4:5], v[2:3]
	;; [unrolled: 1-line block ×3, first 2 shown]
	v_add_f64 v[200:201], v[200:201], -v[204:205]
	v_mul_f64 v[204:205], v[202:203], s[24:25]
	v_fma_f64 v[206:207], v[4:5], s[26:27], v[204:205]
	v_fma_f64 v[204:205], v[4:5], s[26:27], -v[204:205]
	v_add_f64 v[10:11], v[206:207], v[10:11]
	v_mul_f64 v[206:207], v[6:7], s[26:27]
	v_add_f64 v[8:9], v[204:205], v[8:9]
	v_fma_f64 v[204:205], v[200:201], s[24:25], v[206:207]
	v_fma_f64 v[208:209], v[200:201], s[36:37], v[206:207]
	v_add_f64 v[12:13], v[204:205], v[12:13]
	v_mul_f64 v[204:205], v[202:203], s[34:35]
	v_add_f64 v[14:15], v[208:209], v[14:15]
	v_fma_f64 v[206:207], v[4:5], s[6:7], v[204:205]
	v_fma_f64 v[204:205], v[4:5], s[6:7], -v[204:205]
	v_add_f64 v[18:19], v[206:207], v[18:19]
	v_mul_f64 v[206:207], v[6:7], s[6:7]
	v_add_f64 v[16:17], v[204:205], v[16:17]
	v_fma_f64 v[204:205], v[200:201], s[34:35], v[206:207]
	v_fma_f64 v[208:209], v[200:201], s[2:3], v[206:207]
	v_add_f64 v[20:21], v[204:205], v[20:21]
	v_mul_f64 v[204:205], v[202:203], s[14:15]
	v_add_f64 v[22:23], v[208:209], v[22:23]
	;; [unrolled: 10-line block ×3, first 2 shown]
	v_fma_f64 v[206:207], v[4:5], s[30:31], v[204:205]
	v_fma_f64 v[204:205], v[4:5], s[30:31], -v[204:205]
	v_add_f64 v[34:35], v[206:207], v[34:35]
	v_mul_f64 v[206:207], v[6:7], s[30:31]
	v_add_f64 v[32:33], v[204:205], v[32:33]
	v_fma_f64 v[204:205], v[200:201], s[44:45], v[206:207]
	v_fma_f64 v[208:209], v[200:201], s[28:29], v[206:207]
	v_add_f64 v[36:37], v[204:205], v[36:37]
	v_mul_f64 v[204:205], v[202:203], s[38:39]
	v_mul_f64 v[202:203], v[202:203], s[16:17]
	v_add_f64 v[38:39], v[208:209], v[38:39]
	v_fma_f64 v[206:207], v[4:5], s[22:23], v[204:205]
	v_fma_f64 v[204:205], v[4:5], s[22:23], -v[204:205]
	v_add_f64 v[224:225], v[206:207], v[214:215]
	v_mul_f64 v[206:207], v[6:7], s[22:23]
	v_add_f64 v[228:229], v[204:205], v[212:213]
	v_mul_f64 v[6:7], v[6:7], s[18:19]
	v_fma_f64 v[204:205], v[200:201], s[38:39], v[206:207]
	v_fma_f64 v[208:209], v[200:201], s[20:21], v[206:207]
	v_add_f64 v[230:231], v[204:205], v[216:217]
	v_fma_f64 v[204:205], v[4:5], s[18:19], v[202:203]
	v_fma_f64 v[4:5], v[4:5], s[18:19], -v[202:203]
	v_add_f64 v[226:227], v[208:209], v[218:219]
	v_add_f64 v[232:233], v[204:205], v[220:221]
	;; [unrolled: 1-line block ×3, first 2 shown]
	v_fma_f64 v[4:5], v[200:201], s[16:17], v[6:7]
	v_fma_f64 v[204:205], v[200:201], s[40:41], v[6:7]
	v_add_f64 v[6:7], v[194:195], v[198:199]
	v_add_f64 v[2:3], v[4:5], v[2:3]
	;; [unrolled: 1-line block ×3, first 2 shown]
	v_mul_f64 v[192:193], v[236:237], s[28:29]
	v_add_f64 v[234:235], v[204:205], v[222:223]
	v_fma_f64 v[194:195], v[4:5], s[30:31], v[192:193]
	v_add_f64 v[196:197], v[194:195], v[10:11]
	v_mul_f64 v[10:11], v[6:7], s[30:31]
	v_fma_f64 v[194:195], v[238:239], s[44:45], v[10:11]
	v_add_f64 v[198:199], v[194:195], v[14:15]
	v_fma_f64 v[14:15], v[4:5], s[30:31], -v[192:193]
	v_add_f64 v[192:193], v[14:15], v[8:9]
	v_fma_f64 v[8:9], v[238:239], s[28:29], v[10:11]
	v_add_f64 v[194:195], v[8:9], v[12:13]
	v_mul_f64 v[8:9], v[236:237], s[38:39]
	v_fma_f64 v[10:11], v[4:5], s[22:23], v[8:9]
	v_fma_f64 v[8:9], v[4:5], s[22:23], -v[8:9]
	v_add_f64 v[200:201], v[10:11], v[18:19]
	v_mul_f64 v[10:11], v[6:7], s[22:23]
	v_add_f64 v[204:205], v[8:9], v[16:17]
	v_fma_f64 v[8:9], v[238:239], s[38:39], v[10:11]
	v_fma_f64 v[12:13], v[238:239], s[20:21], v[10:11]
	v_add_f64 v[206:207], v[8:9], v[20:21]
	v_mul_f64 v[8:9], v[236:237], s[24:25]
	v_add_f64 v[202:203], v[12:13], v[22:23]
	v_fma_f64 v[10:11], v[4:5], s[26:27], v[8:9]
	v_fma_f64 v[8:9], v[4:5], s[26:27], -v[8:9]
	v_add_f64 v[208:209], v[10:11], v[26:27]
	v_mul_f64 v[10:11], v[6:7], s[26:27]
	v_add_f64 v[212:213], v[8:9], v[24:25]
	v_fma_f64 v[8:9], v[238:239], s[24:25], v[10:11]
	v_fma_f64 v[12:13], v[238:239], s[36:37], v[10:11]
	v_add_f64 v[214:215], v[8:9], v[28:29]
	v_mul_f64 v[8:9], v[236:237], s[42:43]
	v_add_f64 v[210:211], v[12:13], v[30:31]
	;; [unrolled: 10-line block ×3, first 2 shown]
	v_fma_f64 v[10:11], v[4:5], s[18:19], v[8:9]
	v_fma_f64 v[8:9], v[4:5], s[18:19], -v[8:9]
	v_add_f64 v[224:225], v[10:11], v[224:225]
	v_mul_f64 v[10:11], v[6:7], s[18:19]
	v_add_f64 v[228:229], v[8:9], v[228:229]
	v_mul_f64 v[6:7], v[6:7], s[6:7]
	v_fma_f64 v[8:9], v[238:239], s[16:17], v[10:11]
	v_fma_f64 v[12:13], v[238:239], s[40:41], v[10:11]
	v_add_f64 v[230:231], v[8:9], v[230:231]
	v_mul_f64 v[8:9], v[236:237], s[34:35]
	v_add_f64 v[226:227], v[12:13], v[226:227]
	v_fma_f64 v[10:11], v[4:5], s[6:7], v[8:9]
	v_fma_f64 v[4:5], v[4:5], s[6:7], -v[8:9]
	v_add_f64 v[232:233], v[10:11], v[232:233]
	v_fma_f64 v[10:11], v[238:239], s[2:3], v[6:7]
	v_add_f64 v[236:237], v[4:5], v[0:1]
	v_fma_f64 v[0:1], v[238:239], s[34:35], v[6:7]
	v_add_f64 v[234:235], v[10:11], v[234:235]
	v_add_f64 v[238:239], v[0:1], v[2:3]
	ds_write_b128 v252, v[188:191]
	ds_write_b128 v252, v[196:199] offset:16
	ds_write_b128 v252, v[200:203] offset:32
	;; [unrolled: 1-line block ×12, first 2 shown]
	s_waitcnt lgkmcnt(0)
	s_barrier
	ds_read_b128 v[204:207], v249
	ds_read_b128 v[236:239], v249 offset:8112
	ds_read_b128 v[232:235], v249 offset:16224
	;; [unrolled: 1-line block ×11, first 2 shown]
	s_and_saveexec_b64 s[2:3], s[0:1]
	s_cbranch_execz .LBB0_11
; %bb.10:
	ds_read_b128 v[192:195], v249 offset:7488
	ds_read_b128 v[180:183], v249 offset:15600
	;; [unrolled: 1-line block ×3, first 2 shown]
.LBB0_11:
	s_or_b64 exec, exec, s[2:3]
	s_waitcnt lgkmcnt(10)
	v_mul_f64 v[0:1], v[86:87], v[238:239]
	s_waitcnt lgkmcnt(9)
	v_mul_f64 v[4:5], v[78:79], v[234:235]
	v_mul_f64 v[6:7], v[78:79], v[232:233]
	;; [unrolled: 1-line block ×3, first 2 shown]
	s_waitcnt lgkmcnt(3)
	v_mul_f64 v[20:21], v[90:91], v[218:219]
	v_mul_f64 v[22:23], v[90:91], v[216:217]
	;; [unrolled: 1-line block ×4, first 2 shown]
	v_fma_f64 v[0:1], v[84:85], v[236:237], v[0:1]
	v_fma_f64 v[4:5], v[76:77], v[232:233], v[4:5]
	v_fma_f64 v[6:7], v[76:77], v[234:235], -v[6:7]
	v_fma_f64 v[2:3], v[84:85], v[238:239], -v[2:3]
	v_fma_f64 v[20:21], v[88:89], v[216:217], v[20:21]
	v_fma_f64 v[22:23], v[88:89], v[218:219], -v[22:23]
	v_mul_f64 v[16:17], v[98:99], v[222:223]
	v_mul_f64 v[18:19], v[98:99], v[220:221]
	v_add_f64 v[76:77], v[204:205], v[0:1]
	s_mov_b32 s2, 0xe8584caa
	s_mov_b32 s3, 0xbfebb67a
	v_add_f64 v[78:79], v[2:3], -v[6:7]
	s_mov_b32 s7, 0x3febb67a
	s_mov_b32 s6, s2
	v_fma_f64 v[8:9], v[92:93], v[228:229], v[8:9]
	v_fma_f64 v[10:11], v[92:93], v[230:231], -v[10:11]
	v_add_f64 v[88:89], v[76:77], v[4:5]
	v_add_f64 v[76:77], v[0:1], v[4:5]
	v_fma_f64 v[16:17], v[96:97], v[220:221], v[16:17]
	v_fma_f64 v[18:19], v[96:97], v[222:223], -v[18:19]
	v_mul_f64 v[12:13], v[82:83], v[226:227]
	v_add_f64 v[0:1], v[0:1], -v[4:5]
	v_mul_f64 v[14:15], v[82:83], v[224:225]
	s_waitcnt lgkmcnt(0)
	v_mul_f64 v[36:37], v[110:111], v[186:187]
	v_mul_f64 v[38:39], v[110:111], v[184:185]
	v_fma_f64 v[76:77], v[76:77], -0.5, v[204:205]
	v_mul_f64 v[28:29], v[122:123], v[210:211]
	v_mul_f64 v[30:31], v[122:123], v[208:209]
	v_fma_f64 v[12:13], v[80:81], v[224:225], v[12:13]
	v_mul_f64 v[32:33], v[114:115], v[182:183]
	v_fma_f64 v[14:15], v[80:81], v[226:227], -v[14:15]
	v_fma_f64 v[36:37], v[108:109], v[184:185], v[36:37]
	v_fma_f64 v[38:39], v[108:109], v[186:187], -v[38:39]
	v_fma_f64 v[92:93], v[78:79], s[2:3], v[76:77]
	v_fma_f64 v[96:97], v[78:79], s[6:7], v[76:77]
	v_add_f64 v[76:77], v[206:207], v[2:3]
	v_add_f64 v[2:3], v[2:3], v[6:7]
	v_mul_f64 v[34:35], v[114:115], v[180:181]
	v_fma_f64 v[28:29], v[120:121], v[208:209], v[28:29]
	v_fma_f64 v[30:31], v[120:121], v[210:211], -v[30:31]
	v_fma_f64 v[32:33], v[112:113], v[180:181], v[32:33]
	v_mul_f64 v[24:25], v[146:147], v[214:215]
	v_mul_f64 v[26:27], v[146:147], v[212:213]
	v_add_f64 v[90:91], v[76:77], v[6:7]
	v_fma_f64 v[2:3], v[2:3], -0.5, v[206:207]
	v_fma_f64 v[34:35], v[112:113], v[182:183], -v[34:35]
	s_barrier
	v_fma_f64 v[24:25], v[144:145], v[212:213], v[24:25]
	v_fma_f64 v[26:27], v[144:145], v[214:215], -v[26:27]
	v_fma_f64 v[94:95], v[0:1], s[6:7], v[2:3]
	v_fma_f64 v[98:99], v[0:1], s[2:3], v[2:3]
	v_add_f64 v[0:1], v[200:201], v[8:9]
	v_add_f64 v[2:3], v[10:11], -v[14:15]
	v_add_f64 v[108:109], v[0:1], v[12:13]
	v_add_f64 v[0:1], v[8:9], v[12:13]
	v_fma_f64 v[0:1], v[0:1], -0.5, v[200:201]
	v_fma_f64 v[112:113], v[2:3], s[2:3], v[0:1]
	v_fma_f64 v[120:121], v[2:3], s[6:7], v[0:1]
	v_add_f64 v[0:1], v[202:203], v[10:11]
	v_add_f64 v[2:3], v[8:9], -v[12:13]
	v_add_f64 v[110:111], v[0:1], v[14:15]
	v_add_f64 v[0:1], v[10:11], v[14:15]
	v_fma_f64 v[0:1], v[0:1], -0.5, v[202:203]
	;; [unrolled: 7-line block ×8, first 2 shown]
	v_fma_f64 v[82:83], v[2:3], s[6:7], v[0:1]
	v_fma_f64 v[86:87], v[2:3], s[2:3], v[0:1]
	buffer_load_dword v0, off, s[48:51], 0 offset:168 ; 4-byte Folded Reload
	s_waitcnt vmcnt(0)
	ds_write_b128 v0, v[88:91]
	ds_write_b128 v0, v[92:95] offset:208
	ds_write_b128 v0, v[96:99] offset:416
	buffer_load_dword v0, off, s[48:51], 0 offset:172 ; 4-byte Folded Reload
	s_waitcnt vmcnt(0)
	ds_write_b128 v0, v[108:111]
	ds_write_b128 v0, v[112:115] offset:208
	ds_write_b128 v0, v[120:123] offset:416
	buffer_load_dword v0, off, s[48:51], 0 offset:176 ; 4-byte Folded Reload
	s_waitcnt vmcnt(0)
	ds_write_b128 v0, v[144:147]
	ds_write_b128 v0, v[180:183] offset:208
	ds_write_b128 v0, v[184:187] offset:416
	buffer_load_dword v0, off, s[48:51], 0 offset:180 ; 4-byte Folded Reload
	s_waitcnt vmcnt(0)
	ds_write_b128 v0, v[196:199]
	ds_write_b128 v0, v[188:191] offset:208
	ds_write_b128 v0, v[200:203] offset:416
	s_and_saveexec_b64 s[2:3], s[0:1]
	s_cbranch_execz .LBB0_13
; %bb.12:
	buffer_load_dword v0, off, s[48:51], 0 offset:160 ; 4-byte Folded Reload
	buffer_load_dword v1, off, s[48:51], 0 offset:164 ; 4-byte Folded Reload
	s_waitcnt vmcnt(0)
	v_mad_legacy_u16 v0, v0, 39, v1
	v_lshlrev_b32_e32 v0, 4, v0
	ds_write_b128 v0, v[76:79]
	ds_write_b128 v0, v[80:83] offset:208
	ds_write_b128 v0, v[84:87] offset:416
.LBB0_13:
	s_or_b64 exec, exec, s[2:3]
	s_waitcnt lgkmcnt(0)
	s_barrier
	ds_read_b128 v[108:111], v249
	ds_read_b128 v[96:99], v249 offset:1872
	ds_read_b128 v[196:199], v249 offset:8112
	;; [unrolled: 1-line block ×11, first 2 shown]
	s_and_saveexec_b64 s[2:3], s[0:1]
	s_cbranch_execz .LBB0_15
; %bb.14:
	ds_read_b128 v[76:79], v249 offset:7488
	ds_read_b128 v[80:83], v249 offset:15600
	ds_read_b128 v[84:87], v249 offset:23712
.LBB0_15:
	s_or_b64 exec, exec, s[2:3]
	s_waitcnt lgkmcnt(9)
	v_mul_f64 v[2:3], v[66:67], v[196:197]
	s_waitcnt lgkmcnt(7)
	v_mul_f64 v[6:7], v[62:63], v[192:193]
	v_mul_f64 v[0:1], v[66:67], v[198:199]
	;; [unrolled: 1-line block ×4, first 2 shown]
	s_waitcnt lgkmcnt(6)
	v_mul_f64 v[14:15], v[134:135], v[180:181]
	v_mul_f64 v[8:9], v[138:139], v[190:191]
	;; [unrolled: 1-line block ×3, first 2 shown]
	v_fma_f64 v[2:3], v[64:65], v[198:199], -v[2:3]
	v_fma_f64 v[6:7], v[60:61], v[194:195], -v[6:7]
	v_fma_f64 v[0:1], v[64:65], v[196:197], v[0:1]
	v_fma_f64 v[4:5], v[60:61], v[192:193], v[4:5]
	s_waitcnt lgkmcnt(3)
	v_mul_f64 v[18:19], v[74:75], v[184:185]
	v_fma_f64 v[10:11], v[136:137], v[190:191], -v[10:11]
	v_fma_f64 v[14:15], v[132:133], v[182:183], -v[14:15]
	s_waitcnt lgkmcnt(1)
	v_mul_f64 v[22:23], v[70:71], v[144:145]
	s_mov_b32 s2, 0xe8584caa
	v_add_f64 v[38:39], v[2:3], v[6:7]
	v_add_f64 v[34:35], v[108:109], v[0:1]
	;; [unrolled: 1-line block ×3, first 2 shown]
	v_add_f64 v[36:37], v[2:3], -v[6:7]
	v_add_f64 v[2:3], v[110:111], v[2:3]
	v_add_f64 v[0:1], v[0:1], -v[4:5]
	s_mov_b32 s3, 0xbfebb67a
	s_mov_b32 s6, s2
	v_fma_f64 v[38:39], v[38:39], -0.5, v[110:111]
	v_mul_f64 v[16:17], v[74:75], v[186:187]
	v_fma_f64 v[8:9], v[136:137], v[188:189], v[8:9]
	v_fma_f64 v[12:13], v[132:133], v[180:181], v[12:13]
	v_mul_f64 v[20:21], v[70:71], v[146:147]
	v_fma_f64 v[18:19], v[72:73], v[186:187], -v[18:19]
	v_fma_f64 v[22:23], v[68:69], v[146:147], -v[22:23]
	v_add_f64 v[62:63], v[2:3], v[6:7]
	v_add_f64 v[2:3], v[10:11], v[14:15]
	v_fma_f64 v[66:67], v[0:1], s[6:7], v[38:39]
	v_fma_f64 v[70:71], v[0:1], s[2:3], v[38:39]
	v_add_f64 v[0:1], v[98:99], v[10:11]
	v_fma_f64 v[16:17], v[72:73], v[184:185], v[16:17]
	v_fma_f64 v[20:21], v[68:69], v[144:145], v[20:21]
	v_add_f64 v[60:61], v[34:35], v[4:5]
	v_add_f64 v[34:35], v[8:9], v[12:13]
	;; [unrolled: 1-line block ×3, first 2 shown]
	v_fma_f64 v[2:3], v[2:3], -0.5, v[98:99]
	v_add_f64 v[8:9], v[8:9], -v[12:13]
	v_add_f64 v[74:75], v[0:1], v[14:15]
	v_add_f64 v[0:1], v[18:19], v[22:23]
	s_waitcnt lgkmcnt(0)
	v_mul_f64 v[30:31], v[102:103], v[114:115]
	v_mul_f64 v[32:33], v[102:103], v[112:113]
	;; [unrolled: 1-line block ×4, first 2 shown]
	v_fma_f64 v[98:99], v[8:9], s[6:7], v[2:3]
	v_fma_f64 v[102:103], v[8:9], s[2:3], v[2:3]
	v_fma_f64 v[0:1], v[0:1], -0.5, v[94:95]
	v_add_f64 v[8:9], v[16:17], -v[20:21]
	s_barrier
	v_fma_f64 v[28:29], v[28:29], -0.5, v[108:109]
	v_fma_f64 v[6:7], v[34:35], -0.5, v[96:97]
	v_add_f64 v[72:73], v[4:5], v[12:13]
	v_fma_f64 v[30:31], v[100:101], v[112:113], v[30:31]
	v_fma_f64 v[32:33], v[100:101], v[114:115], -v[32:33]
	v_fma_f64 v[106:107], v[8:9], s[6:7], v[0:1]
	v_fma_f64 v[110:111], v[8:9], s[2:3], v[0:1]
	buffer_load_dword v0, off, s[48:51], 0 offset:188 ; 4-byte Folded Reload
	v_fma_f64 v[64:65], v[36:37], s[2:3], v[28:29]
	v_fma_f64 v[68:69], v[36:37], s[6:7], v[28:29]
	v_add_f64 v[28:29], v[10:11], -v[14:15]
	v_add_f64 v[34:35], v[16:17], v[20:21]
	v_add_f64 v[4:5], v[92:93], v[16:17]
	v_add_f64 v[12:13], v[18:19], -v[22:23]
	v_fma_f64 v[24:25], v[104:105], v[120:121], v[24:25]
	v_fma_f64 v[26:27], v[104:105], v[122:123], -v[26:27]
	s_waitcnt vmcnt(0)
	ds_write_b128 v0, v[60:63]
	ds_write_b128 v0, v[64:67] offset:624
	ds_write_b128 v0, v[68:71] offset:1248
	buffer_load_dword v0, off, s[48:51], 0 offset:192 ; 4-byte Folded Reload
	v_fma_f64 v[96:97], v[28:29], s[2:3], v[6:7]
	v_fma_f64 v[100:101], v[28:29], s[6:7], v[6:7]
	v_add_f64 v[6:7], v[94:95], v[18:19]
	v_fma_f64 v[10:11], v[34:35], -0.5, v[92:93]
	v_add_f64 v[92:93], v[4:5], v[20:21]
	v_add_f64 v[2:3], v[24:25], v[30:31]
	;; [unrolled: 1-line block ×4, first 2 shown]
	v_add_f64 v[16:17], v[24:25], -v[30:31]
	s_waitcnt vmcnt(0)
	ds_write_b128 v0, v[72:75]
	ds_write_b128 v0, v[96:99] offset:624
	ds_write_b128 v0, v[100:103] offset:1248
	buffer_load_dword v0, off, s[48:51], 0 offset:196 ; 4-byte Folded Reload
	v_add_f64 v[94:95], v[6:7], v[22:23]
	v_fma_f64 v[104:105], v[12:13], s[2:3], v[10:11]
	v_fma_f64 v[108:109], v[12:13], s[6:7], v[10:11]
	v_add_f64 v[10:11], v[88:89], v[24:25]
	v_fma_f64 v[2:3], v[2:3], -0.5, v[88:89]
	v_add_f64 v[12:13], v[26:27], -v[32:33]
	v_fma_f64 v[4:5], v[4:5], -0.5, v[90:91]
	v_add_f64 v[90:91], v[14:15], v[32:33]
	s_waitcnt vmcnt(0)
	ds_write_b128 v0, v[92:95]
	ds_write_b128 v0, v[104:107] offset:624
	ds_write_b128 v0, v[108:111] offset:1248
	buffer_load_dword v0, off, s[48:51], 0 offset:200 ; 4-byte Folded Reload
	v_add_f64 v[88:89], v[10:11], v[30:31]
	v_fma_f64 v[112:113], v[12:13], s[2:3], v[2:3]
	v_fma_f64 v[114:115], v[16:17], s[6:7], v[4:5]
	;; [unrolled: 1-line block ×4, first 2 shown]
	s_waitcnt vmcnt(0)
	ds_write_b128 v0, v[88:91]
	ds_write_b128 v0, v[112:115] offset:624
	ds_write_b128 v0, v[120:123] offset:1248
	s_and_saveexec_b64 s[12:13], s[0:1]
	s_cbranch_execz .LBB0_17
; %bb.16:
	v_mul_f64 v[4:5], v[58:59], v[82:83]
	v_mul_f64 v[6:7], v[54:55], v[86:87]
	;; [unrolled: 1-line block ×4, first 2 shown]
	v_fma_f64 v[4:5], v[56:57], v[80:81], v[4:5]
	v_fma_f64 v[6:7], v[52:53], v[84:85], v[6:7]
	v_fma_f64 v[0:1], v[56:57], v[82:83], -v[0:1]
	v_fma_f64 v[2:3], v[52:53], v[86:87], -v[2:3]
	v_add_f64 v[10:11], v[4:5], v[6:7]
	v_add_f64 v[14:15], v[78:79], v[0:1]
	;; [unrolled: 1-line block ×3, first 2 shown]
	v_add_f64 v[0:1], v[0:1], -v[2:3]
	v_add_f64 v[12:13], v[4:5], -v[6:7]
	v_add_f64 v[4:5], v[76:77], v[4:5]
	v_fma_f64 v[10:11], v[10:11], -0.5, v[76:77]
	v_add_f64 v[54:55], v[14:15], v[2:3]
	v_fma_f64 v[8:9], v[8:9], -0.5, v[78:79]
	v_add_f64 v[52:53], v[4:5], v[6:7]
	v_fma_f64 v[60:61], v[0:1], s[2:3], v[10:11]
	v_fma_f64 v[56:57], v[0:1], s[6:7], v[10:11]
	buffer_load_dword v0, off, s[48:51], 0 offset:184 ; 4-byte Folded Reload
	v_fma_f64 v[62:63], v[12:13], s[6:7], v[8:9]
	v_fma_f64 v[58:59], v[12:13], s[2:3], v[8:9]
	s_waitcnt vmcnt(0)
	ds_write_b128 v0, v[52:55] offset:22464
	ds_write_b128 v0, v[60:63] offset:23088
	;; [unrolled: 1-line block ×3, first 2 shown]
.LBB0_17:
	s_or_b64 exec, exec, s[12:13]
	s_waitcnt lgkmcnt(0)
	s_barrier
	ds_read_b128 v[52:55], v249 offset:1872
	ds_read_b128 v[56:59], v249 offset:3744
	ds_read_b128 v[72:75], v249
	ds_read_b128 v[60:63], v249 offset:5616
	s_mov_b32 s6, 0x4267c47c
	s_mov_b32 s0, 0xe00740e9
	s_waitcnt lgkmcnt(2)
	v_mul_f64 v[6:7], v[158:159], v[56:57]
	v_mul_f64 v[2:3], v[170:171], v[52:53]
	;; [unrolled: 1-line block ×4, first 2 shown]
	s_waitcnt lgkmcnt(0)
	v_mul_f64 v[10:11], v[150:151], v[60:61]
	v_mul_f64 v[8:9], v[150:151], v[62:63]
	s_mov_b32 s7, 0xbfddbe06
	s_mov_b32 s1, 0x3fec55a7
	v_fma_f64 v[6:7], v[156:157], v[58:59], -v[6:7]
	v_fma_f64 v[2:3], v[168:169], v[54:55], -v[2:3]
	v_fma_f64 v[0:1], v[168:169], v[52:53], v[0:1]
	ds_read_b128 v[52:55], v249 offset:7488
	ds_read_b128 v[64:67], v249 offset:9360
	v_fma_f64 v[4:5], v[156:157], v[56:57], v[4:5]
	v_fma_f64 v[10:11], v[148:149], v[62:63], -v[10:11]
	v_fma_f64 v[8:9], v[148:149], v[60:61], v[8:9]
	s_waitcnt lgkmcnt(1)
	v_mul_f64 v[18:19], v[130:131], v[52:53]
	v_mul_f64 v[16:17], v[130:131], v[54:55]
	v_add_f64 v[14:15], v[74:75], v[2:3]
	v_add_f64 v[12:13], v[72:73], v[0:1]
	s_waitcnt lgkmcnt(0)
	v_mul_f64 v[22:23], v[174:175], v[64:65]
	ds_read_b128 v[56:59], v249 offset:11232
	ds_read_b128 v[68:71], v249 offset:13104
	v_mul_f64 v[20:21], v[174:175], v[66:67]
	ds_read_b128 v[76:79], v249 offset:14976
	ds_read_b128 v[80:83], v249 offset:16848
	v_fma_f64 v[18:19], v[128:129], v[54:55], -v[18:19]
	v_fma_f64 v[16:17], v[128:129], v[52:53], v[16:17]
	v_add_f64 v[14:15], v[14:15], v[6:7]
	v_add_f64 v[12:13], v[12:13], v[4:5]
	s_waitcnt lgkmcnt(3)
	v_mul_f64 v[26:27], v[142:143], v[56:57]
	v_fma_f64 v[66:67], v[172:173], v[66:67], -v[22:23]
	v_mul_f64 v[24:25], v[142:143], v[58:59]
	v_fma_f64 v[64:65], v[172:173], v[64:65], v[20:21]
	s_waitcnt lgkmcnt(2)
	v_mul_f64 v[22:23], v[126:127], v[68:69]
	v_mul_f64 v[20:21], v[126:127], v[70:71]
	v_add_f64 v[14:15], v[14:15], v[10:11]
	v_add_f64 v[12:13], v[12:13], v[8:9]
	v_fma_f64 v[58:59], v[140:141], v[58:59], -v[26:27]
	s_waitcnt lgkmcnt(1)
	v_mul_f64 v[26:27], v[118:119], v[76:77]
	v_fma_f64 v[56:57], v[140:141], v[56:57], v[24:25]
	v_mul_f64 v[24:25], v[118:119], v[78:79]
	v_fma_f64 v[62:63], v[124:125], v[70:71], -v[22:23]
	v_fma_f64 v[60:61], v[124:125], v[68:69], v[20:21]
	v_add_f64 v[14:15], v[14:15], v[18:19]
	v_add_f64 v[12:13], v[12:13], v[16:17]
	s_waitcnt lgkmcnt(0)
	v_mul_f64 v[22:23], v[178:179], v[80:81]
	v_fma_f64 v[70:71], v[116:117], v[78:79], -v[26:27]
	ds_read_b128 v[52:55], v249 offset:18720
	ds_read_b128 v[84:87], v249 offset:20592
	;; [unrolled: 1-line block ×3, first 2 shown]
	v_mul_f64 v[20:21], v[178:179], v[82:83]
	v_fma_f64 v[68:69], v[116:117], v[76:77], v[24:25]
	s_waitcnt lgkmcnt(2)
	v_mul_f64 v[26:27], v[162:163], v[52:53]
	v_add_f64 v[14:15], v[14:15], v[66:67]
	v_add_f64 v[12:13], v[12:13], v[64:65]
	s_waitcnt lgkmcnt(0)
	v_mul_f64 v[28:29], v[166:167], v[88:89]
	v_fma_f64 v[22:23], v[176:177], v[82:83], -v[22:23]
	v_mul_f64 v[30:31], v[162:163], v[54:55]
	v_mul_f64 v[24:25], v[166:167], v[90:91]
	v_fma_f64 v[20:21], v[176:177], v[80:81], v[20:21]
	v_mul_f64 v[34:35], v[154:155], v[84:85]
	v_add_f64 v[14:15], v[14:15], v[58:59]
	v_add_f64 v[12:13], v[12:13], v[56:57]
	v_fma_f64 v[28:29], v[164:165], v[90:91], -v[28:29]
	v_fma_f64 v[26:27], v[160:161], v[54:55], -v[26:27]
	v_mul_f64 v[32:33], v[154:155], v[86:87]
	v_fma_f64 v[24:25], v[164:165], v[88:89], v[24:25]
	v_fma_f64 v[30:31], v[160:161], v[52:53], v[30:31]
	v_fma_f64 v[34:35], v[152:153], v[86:87], -v[34:35]
	v_add_f64 v[14:15], v[14:15], v[62:63]
	v_add_f64 v[12:13], v[12:13], v[60:61]
	v_add_f64 v[36:37], v[2:3], -v[28:29]
	v_add_f64 v[2:3], v[2:3], v[28:29]
	v_fma_f64 v[32:33], v[152:153], v[84:85], v[32:33]
	v_add_f64 v[38:39], v[0:1], v[24:25]
	v_add_f64 v[0:1], v[0:1], -v[24:25]
	s_mov_b32 s16, 0x42a4c3d2
	v_add_f64 v[14:15], v[14:15], v[70:71]
	v_add_f64 v[12:13], v[12:13], v[68:69]
	v_mul_f64 v[52:53], v[36:37], s[6:7]
	v_mul_f64 v[54:55], v[2:3], s[0:1]
	s_mov_b32 s2, 0x66966769
	s_mov_b32 s22, 0x2ef20147
	;; [unrolled: 1-line block ×4, first 2 shown]
	v_add_f64 v[14:15], v[14:15], v[22:23]
	v_add_f64 v[12:13], v[12:13], v[20:21]
	s_mov_b32 s38, 0x4bc48dbf
	s_mov_b32 s25, 0x3fddbe06
	;; [unrolled: 1-line block ×6, first 2 shown]
	v_add_f64 v[14:15], v[14:15], v[26:27]
	v_add_f64 v[12:13], v[12:13], v[30:31]
	s_mov_b32 s31, 0xbfe5384d
	s_mov_b32 s35, 0xbfe7f3cc
	;; [unrolled: 1-line block ×3, first 2 shown]
	v_fma_f64 v[76:77], v[38:39], s[0:1], v[52:53]
	v_fma_f64 v[78:79], v[0:1], s[24:25], v[54:55]
	v_fma_f64 v[52:53], v[38:39], s[0:1], -v[52:53]
	v_add_f64 v[14:15], v[14:15], v[34:35]
	v_fma_f64 v[80:81], v[0:1], s[6:7], v[54:55]
	v_add_f64 v[12:13], v[12:13], v[32:33]
	v_mul_f64 v[82:83], v[36:37], s[16:17]
	v_mul_f64 v[92:93], v[36:37], s[22:23]
	;; [unrolled: 1-line block ×4, first 2 shown]
	v_add_f64 v[108:109], v[6:7], v[34:35]
	v_add_f64 v[54:55], v[14:15], v[28:29]
	v_mul_f64 v[28:29], v[36:37], s[2:3]
	v_mul_f64 v[36:37], v[36:37], s[38:39]
	v_add_f64 v[6:7], v[6:7], -v[34:35]
	s_mov_b32 s18, 0x1ea71119
	s_mov_b32 s12, 0xebaa3ed8
	s_mov_b32 s26, 0xb2365da1
	s_mov_b32 s40, 0x93053d00
	s_mov_b32 s19, 0x3fe22d96
	s_mov_b32 s13, 0x3fbedb7d
	s_mov_b32 s27, 0xbfd6b1d8
	s_mov_b32 s36, s30
	s_mov_b32 s41, 0xbfef11f4
	v_add_f64 v[84:85], v[72:73], v[52:53]
	v_add_f64 v[52:53], v[12:13], v[24:25]
	;; [unrolled: 1-line block ×3, first 2 shown]
	v_fma_f64 v[14:15], v[38:39], s[18:19], v[82:83]
	v_mul_f64 v[24:25], v[2:3], s[18:19]
	v_mul_f64 v[80:81], v[2:3], s[12:13]
	v_fma_f64 v[82:83], v[38:39], s[18:19], -v[82:83]
	v_fma_f64 v[88:89], v[38:39], s[12:13], v[28:29]
	v_fma_f64 v[28:29], v[38:39], s[12:13], -v[28:29]
	v_fma_f64 v[94:95], v[38:39], s[26:27], v[92:93]
	v_mul_f64 v[96:97], v[2:3], s[26:27]
	v_fma_f64 v[92:93], v[38:39], s[26:27], -v[92:93]
	v_fma_f64 v[104:105], v[38:39], s[34:35], v[98:99]
	v_fma_f64 v[106:107], v[0:1], s[36:37], v[100:101]
	v_fma_f64 v[98:99], v[38:39], s[34:35], -v[98:99]
	v_fma_f64 v[100:101], v[0:1], s[30:31], v[100:101]
	v_mul_f64 v[2:3], v[2:3], s[40:41]
	v_fma_f64 v[34:35], v[38:39], s[40:41], v[36:37]
	v_add_f64 v[110:111], v[4:5], v[32:33]
	v_add_f64 v[4:5], v[4:5], -v[32:33]
	v_mul_f64 v[32:33], v[6:7], s[16:17]
	v_mul_f64 v[112:113], v[108:109], s[18:19]
	v_fma_f64 v[36:37], v[38:39], s[40:41], -v[36:37]
	s_mov_b32 s21, 0x3fea55e2
	s_mov_b32 s20, s16
	;; [unrolled: 1-line block ×8, first 2 shown]
	v_add_f64 v[76:77], v[72:73], v[76:77]
	v_add_f64 v[78:79], v[74:75], v[78:79]
	v_fma_f64 v[86:87], v[0:1], s[20:21], v[24:25]
	v_add_f64 v[14:15], v[72:73], v[14:15]
	v_fma_f64 v[24:25], v[0:1], s[16:17], v[24:25]
	v_fma_f64 v[90:91], v[0:1], s[14:15], v[80:81]
	v_add_f64 v[82:83], v[72:73], v[82:83]
	v_add_f64 v[88:89], v[72:73], v[88:89]
	v_fma_f64 v[80:81], v[0:1], s[2:3], v[80:81]
	v_fma_f64 v[102:103], v[0:1], s[28:29], v[96:97]
	;; [unrolled: 1-line block ×3, first 2 shown]
	v_add_f64 v[28:29], v[72:73], v[28:29]
	v_add_f64 v[94:95], v[72:73], v[94:95]
	v_add_f64 v[92:93], v[72:73], v[92:93]
	v_add_f64 v[104:105], v[72:73], v[104:105]
	v_fma_f64 v[114:115], v[0:1], s[42:43], v[2:3]
	v_fma_f64 v[0:1], v[0:1], s[38:39], v[2:3]
	v_add_f64 v[2:3], v[72:73], v[98:99]
	v_add_f64 v[38:39], v[74:75], v[100:101]
	v_fma_f64 v[98:99], v[110:111], s[18:19], v[32:33]
	v_fma_f64 v[100:101], v[4:5], s[20:21], v[112:113]
	v_add_f64 v[34:35], v[72:73], v[34:35]
	v_add_f64 v[36:37], v[72:73], v[36:37]
	v_mul_f64 v[72:73], v[6:7], s[22:23]
	v_add_f64 v[86:87], v[74:75], v[86:87]
	v_add_f64 v[24:25], v[74:75], v[24:25]
	;; [unrolled: 1-line block ×9, first 2 shown]
	v_mul_f64 v[74:75], v[108:109], s[26:27]
	v_add_f64 v[76:77], v[98:99], v[76:77]
	v_add_f64 v[78:79], v[100:101], v[78:79]
	v_fma_f64 v[32:33], v[110:111], s[18:19], -v[32:33]
	v_fma_f64 v[98:99], v[4:5], s[16:17], v[112:113]
	v_mul_f64 v[100:101], v[6:7], s[38:39]
	v_mul_f64 v[112:113], v[108:109], s[40:41]
	v_fma_f64 v[116:117], v[110:111], s[26:27], v[72:73]
	v_fma_f64 v[72:73], v[110:111], s[26:27], -v[72:73]
	v_fma_f64 v[118:119], v[4:5], s[28:29], v[74:75]
	v_fma_f64 v[74:75], v[4:5], s[22:23], v[74:75]
	v_add_f64 v[32:33], v[32:33], v[84:85]
	v_add_f64 v[12:13], v[98:99], v[12:13]
	v_fma_f64 v[84:85], v[110:111], s[40:41], v[100:101]
	v_fma_f64 v[98:99], v[4:5], s[42:43], v[112:113]
	v_fma_f64 v[100:101], v[110:111], s[40:41], -v[100:101]
	v_add_f64 v[72:73], v[72:73], v[82:83]
	v_mul_f64 v[82:83], v[108:109], s[34:35]
	v_add_f64 v[86:87], v[118:119], v[86:87]
	v_add_f64 v[24:25], v[74:75], v[24:25]
	v_mul_f64 v[74:75], v[6:7], s[36:37]
	v_add_f64 v[84:85], v[84:85], v[88:89]
	v_add_f64 v[88:89], v[98:99], v[90:91]
	v_mul_f64 v[90:91], v[6:7], s[14:15]
	v_mul_f64 v[98:99], v[108:109], s[12:13]
	v_fma_f64 v[118:119], v[4:5], s[30:31], v[82:83]
	v_add_f64 v[14:15], v[116:117], v[14:15]
	v_fma_f64 v[82:83], v[4:5], s[36:37], v[82:83]
	v_fma_f64 v[116:117], v[110:111], s[34:35], v[74:75]
	v_fma_f64 v[74:75], v[110:111], s[34:35], -v[74:75]
	v_add_f64 v[28:29], v[100:101], v[28:29]
	v_fma_f64 v[120:121], v[110:111], s[12:13], v[90:91]
	v_fma_f64 v[122:123], v[4:5], s[2:3], v[98:99]
	v_add_f64 v[100:101], v[118:119], v[102:103]
	v_add_f64 v[102:103], v[10:11], -v[26:27]
	v_add_f64 v[10:11], v[10:11], v[26:27]
	v_fma_f64 v[112:113], v[4:5], s[38:39], v[112:113]
	v_add_f64 v[74:75], v[74:75], v[92:93]
	v_add_f64 v[82:83], v[82:83], v[96:97]
	;; [unrolled: 1-line block ×4, first 2 shown]
	v_mul_f64 v[6:7], v[6:7], s[24:25]
	v_mul_f64 v[26:27], v[108:109], s[0:1]
	v_fma_f64 v[90:91], v[110:111], s[12:13], -v[90:91]
	v_fma_f64 v[98:99], v[4:5], s[14:15], v[98:99]
	v_add_f64 v[104:105], v[8:9], v[30:31]
	v_add_f64 v[8:9], v[8:9], -v[30:31]
	v_mul_f64 v[30:31], v[102:103], s[2:3]
	v_mul_f64 v[106:107], v[10:11], s[12:13]
	v_add_f64 v[80:81], v[112:113], v[80:81]
	v_fma_f64 v[108:109], v[110:111], s[0:1], v[6:7]
	v_fma_f64 v[112:113], v[4:5], s[6:7], v[26:27]
	v_fma_f64 v[6:7], v[110:111], s[0:1], -v[6:7]
	v_fma_f64 v[4:5], v[4:5], s[24:25], v[26:27]
	v_add_f64 v[2:3], v[90:91], v[2:3]
	v_add_f64 v[26:27], v[98:99], v[38:39]
	v_fma_f64 v[38:39], v[104:105], s[12:13], v[30:31]
	v_fma_f64 v[90:91], v[8:9], s[14:15], v[106:107]
	v_fma_f64 v[30:31], v[104:105], s[12:13], -v[30:31]
	v_add_f64 v[34:35], v[108:109], v[34:35]
	v_add_f64 v[6:7], v[6:7], v[36:37]
	v_mul_f64 v[36:37], v[10:11], s[40:41]
	v_add_f64 v[0:1], v[4:5], v[0:1]
	v_mul_f64 v[4:5], v[102:103], s[38:39]
	v_add_f64 v[38:39], v[38:39], v[76:77]
	v_add_f64 v[76:77], v[90:91], v[78:79]
	v_mul_f64 v[90:91], v[102:103], s[28:29]
	v_fma_f64 v[78:79], v[8:9], s[2:3], v[106:107]
	v_mul_f64 v[106:107], v[10:11], s[26:27]
	v_fma_f64 v[110:111], v[8:9], s[42:43], v[36:37]
	v_fma_f64 v[36:37], v[8:9], s[38:39], v[36:37]
	v_add_f64 v[30:31], v[30:31], v[32:33]
	v_fma_f64 v[108:109], v[104:105], s[40:41], v[4:5]
	v_fma_f64 v[4:5], v[104:105], s[40:41], -v[4:5]
	v_fma_f64 v[32:33], v[104:105], s[26:27], v[90:91]
	v_add_f64 v[12:13], v[78:79], v[12:13]
	v_fma_f64 v[78:79], v[8:9], s[22:23], v[106:107]
	v_add_f64 v[98:99], v[112:113], v[114:115]
	v_add_f64 v[24:25], v[36:37], v[24:25]
	v_mul_f64 v[36:37], v[102:103], s[24:25]
	v_add_f64 v[14:15], v[108:109], v[14:15]
	v_add_f64 v[4:5], v[4:5], v[72:73]
	;; [unrolled: 1-line block ×3, first 2 shown]
	v_mul_f64 v[84:85], v[102:103], s[16:17]
	v_mul_f64 v[72:73], v[10:11], s[0:1]
	v_add_f64 v[78:79], v[78:79], v[88:89]
	v_mul_f64 v[88:89], v[10:11], s[18:19]
	v_fma_f64 v[108:109], v[104:105], s[0:1], v[36:37]
	v_fma_f64 v[36:37], v[104:105], s[0:1], -v[36:37]
	v_add_f64 v[94:95], v[116:117], v[94:95]
	v_add_f64 v[86:87], v[110:111], v[86:87]
	v_fma_f64 v[112:113], v[104:105], s[18:19], v[84:85]
	v_fma_f64 v[90:91], v[104:105], s[26:27], -v[90:91]
	v_fma_f64 v[110:111], v[8:9], s[6:7], v[72:73]
	v_fma_f64 v[72:73], v[8:9], s[24:25], v[72:73]
	;; [unrolled: 1-line block ×3, first 2 shown]
	v_add_f64 v[36:37], v[36:37], v[74:75]
	v_fma_f64 v[106:107], v[8:9], s[28:29], v[106:107]
	v_mul_f64 v[10:11], v[10:11], s[34:35]
	v_add_f64 v[74:75], v[112:113], v[92:93]
	v_add_f64 v[92:93], v[18:19], -v[22:23]
	v_add_f64 v[18:19], v[18:19], v[22:23]
	v_add_f64 v[28:29], v[90:91], v[28:29]
	;; [unrolled: 1-line block ×6, first 2 shown]
	v_mul_f64 v[22:23], v[102:103], s[30:31]
	v_fma_f64 v[84:85], v[104:105], s[18:19], -v[84:85]
	v_fma_f64 v[88:89], v[8:9], s[16:17], v[88:89]
	v_add_f64 v[96:97], v[16:17], v[20:21]
	v_add_f64 v[16:17], v[16:17], -v[20:21]
	v_mul_f64 v[20:21], v[92:93], s[22:23]
	v_mul_f64 v[100:101], v[18:19], s[26:27]
	v_add_f64 v[80:81], v[106:107], v[80:81]
	v_fma_f64 v[102:103], v[104:105], s[34:35], v[22:23]
	v_fma_f64 v[106:107], v[8:9], s[36:37], v[10:11]
	v_fma_f64 v[22:23], v[104:105], s[34:35], -v[22:23]
	v_fma_f64 v[8:9], v[8:9], s[30:31], v[10:11]
	v_add_f64 v[2:3], v[84:85], v[2:3]
	v_add_f64 v[10:11], v[88:89], v[26:27]
	v_fma_f64 v[26:27], v[96:97], s[26:27], v[20:21]
	v_fma_f64 v[84:85], v[16:17], s[28:29], v[100:101]
	v_fma_f64 v[20:21], v[96:97], s[26:27], -v[20:21]
	v_add_f64 v[88:89], v[106:107], v[98:99]
	v_add_f64 v[6:7], v[22:23], v[6:7]
	;; [unrolled: 1-line block ×3, first 2 shown]
	v_mul_f64 v[8:9], v[92:93], s[36:37]
	v_mul_f64 v[22:23], v[18:19], s[34:35]
	v_add_f64 v[26:27], v[26:27], v[38:39]
	v_add_f64 v[38:39], v[84:85], v[76:77]
	v_fma_f64 v[76:77], v[16:17], s[22:23], v[100:101]
	v_mul_f64 v[84:85], v[92:93], s[24:25]
	v_mul_f64 v[98:99], v[18:19], s[0:1]
	v_add_f64 v[34:35], v[102:103], v[34:35]
	v_fma_f64 v[100:101], v[96:97], s[34:35], v[8:9]
	v_fma_f64 v[102:103], v[16:17], s[30:31], v[22:23]
	v_fma_f64 v[8:9], v[96:97], s[34:35], -v[8:9]
	v_fma_f64 v[22:23], v[16:17], s[36:37], v[22:23]
	v_add_f64 v[20:21], v[20:21], v[30:31]
	v_add_f64 v[12:13], v[76:77], v[12:13]
	v_fma_f64 v[30:31], v[96:97], s[0:1], v[84:85]
	v_fma_f64 v[76:77], v[16:17], s[6:7], v[98:99]
	v_add_f64 v[14:15], v[100:101], v[14:15]
	v_add_f64 v[86:87], v[102:103], v[86:87]
	;; [unrolled: 1-line block ×4, first 2 shown]
	v_mul_f64 v[22:23], v[92:93], s[2:3]
	v_mul_f64 v[24:25], v[18:19], s[12:13]
	v_add_f64 v[30:31], v[30:31], v[32:33]
	v_add_f64 v[32:33], v[76:77], v[78:79]
	v_fma_f64 v[76:77], v[96:97], s[0:1], -v[84:85]
	v_fma_f64 v[78:79], v[16:17], s[24:25], v[98:99]
	v_mul_f64 v[84:85], v[92:93], s[42:43]
	v_mul_f64 v[98:99], v[18:19], s[40:41]
	v_fma_f64 v[100:101], v[96:97], s[12:13], v[22:23]
	v_fma_f64 v[102:103], v[16:17], s[14:15], v[24:25]
	v_fma_f64 v[22:23], v[96:97], s[12:13], -v[22:23]
	v_fma_f64 v[24:25], v[16:17], s[2:3], v[24:25]
	v_add_f64 v[28:29], v[76:77], v[28:29]
	v_add_f64 v[76:77], v[78:79], v[80:81]
	v_fma_f64 v[78:79], v[96:97], s[40:41], v[84:85]
	v_fma_f64 v[80:81], v[16:17], s[38:39], v[98:99]
	v_mul_f64 v[18:19], v[18:19], s[18:19]
	v_add_f64 v[90:91], v[100:101], v[90:91]
	v_add_f64 v[22:23], v[22:23], v[36:37]
	;; [unrolled: 1-line block ×3, first 2 shown]
	v_mul_f64 v[36:37], v[92:93], s[20:21]
	v_add_f64 v[92:93], v[64:65], v[68:69]
	v_add_f64 v[72:73], v[78:79], v[74:75]
	v_add_f64 v[78:79], v[66:67], -v[70:71]
	v_add_f64 v[66:67], v[66:67], v[70:71]
	v_add_f64 v[74:75], v[80:81], v[82:83]
	v_fma_f64 v[70:71], v[96:97], s[40:41], -v[84:85]
	v_fma_f64 v[80:81], v[16:17], s[42:43], v[98:99]
	v_fma_f64 v[82:83], v[96:97], s[18:19], v[36:37]
	;; [unrolled: 1-line block ×3, first 2 shown]
	v_add_f64 v[64:65], v[64:65], -v[68:69]
	v_mul_f64 v[68:69], v[78:79], s[30:31]
	v_fma_f64 v[36:37], v[96:97], s[18:19], -v[36:37]
	v_fma_f64 v[16:17], v[16:17], s[20:21], v[18:19]
	v_mul_f64 v[98:99], v[66:67], s[34:35]
	v_add_f64 v[2:3], v[70:71], v[2:3]
	v_add_f64 v[10:11], v[80:81], v[10:11]
	;; [unrolled: 1-line block ×4, first 2 shown]
	v_fma_f64 v[70:71], v[92:93], s[34:35], v[68:69]
	v_add_f64 v[6:7], v[36:37], v[6:7]
	v_add_f64 v[0:1], v[16:17], v[0:1]
	v_mul_f64 v[16:17], v[78:79], s[14:15]
	v_mul_f64 v[36:37], v[66:67], s[12:13]
	v_fma_f64 v[80:81], v[64:65], s[36:37], v[98:99]
	v_fma_f64 v[68:69], v[92:93], s[34:35], -v[68:69]
	v_fma_f64 v[82:83], v[64:65], s[30:31], v[98:99]
	v_add_f64 v[26:27], v[70:71], v[26:27]
	v_mul_f64 v[70:71], v[78:79], s[16:17]
	v_add_f64 v[94:95], v[102:103], v[94:95]
	v_fma_f64 v[84:85], v[92:93], s[12:13], v[16:17]
	v_fma_f64 v[88:89], v[64:65], s[2:3], v[36:37]
	v_add_f64 v[38:39], v[80:81], v[38:39]
	v_mul_f64 v[80:81], v[66:67], s[18:19]
	v_add_f64 v[20:21], v[68:69], v[20:21]
	v_fma_f64 v[16:17], v[92:93], s[12:13], -v[16:17]
	v_fma_f64 v[68:69], v[92:93], s[18:19], v[70:71]
	v_add_f64 v[12:13], v[82:83], v[12:13]
	v_add_f64 v[14:15], v[84:85], v[14:15]
	;; [unrolled: 1-line block ×3, first 2 shown]
	v_mul_f64 v[86:87], v[78:79], s[42:43]
	v_fma_f64 v[36:37], v[64:65], s[14:15], v[36:37]
	v_fma_f64 v[82:83], v[64:65], s[20:21], v[80:81]
	v_mul_f64 v[88:89], v[66:67], s[40:41]
	v_add_f64 v[4:5], v[16:17], v[4:5]
	v_add_f64 v[16:17], v[68:69], v[30:31]
	;; [unrolled: 1-line block ×4, first 2 shown]
	v_fma_f64 v[68:69], v[92:93], s[40:41], v[86:87]
	v_fma_f64 v[86:87], v[92:93], s[40:41], -v[86:87]
	v_add_f64 v[8:9], v[36:37], v[8:9]
	v_add_f64 v[30:31], v[82:83], v[32:33]
	v_fma_f64 v[32:33], v[92:93], s[18:19], -v[70:71]
	v_fma_f64 v[36:37], v[64:65], s[16:17], v[80:81]
	v_fma_f64 v[70:71], v[64:65], s[38:39], v[88:89]
	v_mul_f64 v[80:81], v[78:79], s[24:25]
	v_mul_f64 v[82:83], v[66:67], s[0:1]
	v_add_f64 v[22:23], v[86:87], v[22:23]
	v_mul_f64 v[78:79], v[78:79], s[22:23]
	v_add_f64 v[86:87], v[58:59], -v[62:63]
	v_fma_f64 v[88:89], v[64:65], s[42:43], v[88:89]
	v_add_f64 v[28:29], v[32:33], v[28:29]
	v_add_f64 v[32:33], v[36:37], v[76:77]
	;; [unrolled: 1-line block ×4, first 2 shown]
	v_fma_f64 v[68:69], v[92:93], s[0:1], v[80:81]
	v_fma_f64 v[70:71], v[64:65], s[6:7], v[82:83]
	v_mul_f64 v[66:67], v[66:67], s[26:27]
	v_fma_f64 v[58:59], v[92:93], s[26:27], v[78:79]
	v_add_f64 v[100:101], v[56:57], -v[60:61]
	v_mul_f64 v[56:57], v[86:87], s[38:39]
	v_add_f64 v[24:25], v[88:89], v[24:25]
	v_fma_f64 v[76:77], v[92:93], s[0:1], -v[80:81]
	v_fma_f64 v[80:81], v[64:65], s[24:25], v[82:83]
	v_add_f64 v[88:89], v[68:69], v[72:73]
	v_add_f64 v[94:95], v[70:71], v[74:75]
	v_fma_f64 v[62:63], v[64:65], s[28:29], v[66:67]
	v_mul_f64 v[60:61], v[96:97], s[40:41]
	v_fma_f64 v[68:69], v[92:93], s[26:27], -v[78:79]
	v_fma_f64 v[64:65], v[64:65], s[22:23], v[66:67]
	v_mul_f64 v[70:71], v[86:87], s[24:25]
	v_add_f64 v[18:19], v[58:59], v[18:19]
	v_fma_f64 v[58:59], v[98:99], s[40:41], v[56:57]
	v_mul_f64 v[72:73], v[96:97], s[0:1]
	v_add_f64 v[34:35], v[62:63], v[34:35]
	v_fma_f64 v[62:63], v[100:101], s[42:43], v[60:61]
	v_add_f64 v[6:7], v[68:69], v[6:7]
	v_add_f64 v[0:1], v[64:65], v[0:1]
	v_fma_f64 v[64:65], v[98:99], s[40:41], -v[56:57]
	v_fma_f64 v[66:67], v[100:101], s[38:39], v[60:61]
	v_fma_f64 v[68:69], v[98:99], s[0:1], v[70:71]
	v_add_f64 v[56:57], v[58:59], v[26:27]
	v_mul_f64 v[26:27], v[86:87], s[30:31]
	v_add_f64 v[10:11], v[80:81], v[10:11]
	v_add_f64 v[58:59], v[62:63], v[38:39]
	v_mul_f64 v[80:81], v[86:87], s[20:21]
	v_add_f64 v[60:61], v[64:65], v[20:21]
	v_add_f64 v[62:63], v[66:67], v[12:13]
	;; [unrolled: 1-line block ×3, first 2 shown]
	v_fma_f64 v[12:13], v[98:99], s[0:1], -v[70:71]
	v_fma_f64 v[14:15], v[100:101], s[24:25], v[72:73]
	v_mul_f64 v[82:83], v[96:97], s[18:19]
	v_fma_f64 v[20:21], v[98:99], s[34:35], v[26:27]
	v_fma_f64 v[74:75], v[100:101], s[6:7], v[72:73]
	v_mul_f64 v[38:39], v[96:97], s[34:35]
	v_add_f64 v[2:3], v[76:77], v[2:3]
	v_fma_f64 v[26:27], v[98:99], s[34:35], -v[26:27]
	v_add_f64 v[68:69], v[12:13], v[4:5]
	v_add_f64 v[70:71], v[14:15], v[8:9]
	v_fma_f64 v[4:5], v[98:99], s[18:19], v[80:81]
	v_fma_f64 v[8:9], v[100:101], s[16:17], v[82:83]
	v_add_f64 v[72:73], v[20:21], v[16:17]
	v_fma_f64 v[12:13], v[98:99], s[18:19], -v[80:81]
	v_fma_f64 v[14:15], v[100:101], s[20:21], v[82:83]
	v_mul_f64 v[16:17], v[86:87], s[22:23]
	v_mul_f64 v[20:21], v[96:97], s[26:27]
	v_add_f64 v[66:67], v[74:75], v[84:85]
	v_add_f64 v[80:81], v[4:5], v[36:37]
	;; [unrolled: 1-line block ×3, first 2 shown]
	v_mul_f64 v[4:5], v[86:87], s[14:15]
	v_mul_f64 v[8:9], v[96:97], s[12:13]
	v_fma_f64 v[74:75], v[100:101], s[36:37], v[38:39]
	v_add_f64 v[84:85], v[12:13], v[22:23]
	v_add_f64 v[86:87], v[14:15], v[24:25]
	v_fma_f64 v[12:13], v[98:99], s[26:27], v[16:17]
	v_fma_f64 v[14:15], v[100:101], s[28:29], v[20:21]
	;; [unrolled: 1-line block ×5, first 2 shown]
	v_fma_f64 v[4:5], v[98:99], s[12:13], -v[4:5]
	v_fma_f64 v[8:9], v[100:101], s[14:15], v[8:9]
	v_fma_f64 v[16:17], v[98:99], s[26:27], -v[16:17]
	v_fma_f64 v[20:21], v[100:101], s[22:23], v[20:21]
	v_add_f64 v[74:75], v[74:75], v[30:31]
	v_add_f64 v[88:89], v[12:13], v[88:89]
	;; [unrolled: 1-line block ×11, first 2 shown]
	ds_write_b128 v249, v[52:55]
	ds_write_b128 v249, v[56:59] offset:1872
	ds_write_b128 v249, v[64:67] offset:3744
	;; [unrolled: 1-line block ×12, first 2 shown]
	s_waitcnt lgkmcnt(0)
	s_barrier
	ds_read_b128 v[52:55], v249
	ds_read_b128 v[56:59], v249 offset:1872
	buffer_load_dword v10, off, s[48:51], 0 offset:80 ; 4-byte Folded Reload
	buffer_load_dword v11, off, s[48:51], 0 offset:84 ; 4-byte Folded Reload
	;; [unrolled: 1-line block ×4, first 2 shown]
	v_mad_u64_u32 v[0:1], s[0:1], s10, v240, 0
	s_waitcnt lgkmcnt(1)
	v_mul_f64 v[2:3], v[50:51], v[54:55]
	v_mul_f64 v[4:5], v[50:51], v[52:53]
	ds_read_b128 v[20:23], v249 offset:3744
	s_mul_i32 s2, s9, 0x750
	s_mul_hi_u32 s3, s8, 0x750
	s_add_i32 s2, s3, s2
	s_mul_i32 s3, s8, 0x750
	v_mad_u64_u32 v[6:7], s[0:1], s11, v240, v[1:2]
	v_mad_u64_u32 v[7:8], s[0:1], s8, v255, 0
	v_fma_f64 v[2:3], v[48:49], v[52:53], v[2:3]
	v_fma_f64 v[4:5], v[48:49], v[54:55], -v[4:5]
	ds_read_b128 v[52:55], v249 offset:5616
	v_mov_b32_e32 v1, v6
	v_mov_b32_e32 v6, v8
	v_mad_u64_u32 v[8:9], s[0:1], s9, v255, v[6:7]
	s_mov_b32 s0, 0x509ee28c
	s_mov_b32 s1, 0x3f458b31
	v_mul_f64 v[48:49], v[2:3], s[0:1]
	v_mul_f64 v[50:51], v[4:5], s[0:1]
	v_lshlrev_b64 v[0:1], 4, v[0:1]
	v_mov_b32_e32 v6, s5
	v_add_co_u32_e32 v9, vcc, s4, v0
	v_addc_co_u32_e32 v6, vcc, v6, v1, vcc
	v_lshlrev_b64 v[0:1], 4, v[7:8]
	v_add_co_u32_e32 v0, vcc, v9, v0
	v_addc_co_u32_e32 v1, vcc, v6, v1, vcc
	global_store_dwordx4 v[0:1], v[48:51], off
	s_waitcnt vmcnt(1) lgkmcnt(2)
	v_mul_f64 v[2:3], v[12:13], v[58:59]
	v_mul_f64 v[4:5], v[12:13], v[56:57]
	v_fma_f64 v[2:3], v[10:11], v[56:57], v[2:3]
	v_fma_f64 v[4:5], v[10:11], v[58:59], -v[4:5]
	buffer_load_dword v8, off, s[48:51], 0  ; 4-byte Folded Reload
	buffer_load_dword v9, off, s[48:51], 0 offset:4 ; 4-byte Folded Reload
	buffer_load_dword v10, off, s[48:51], 0 offset:8 ; 4-byte Folded Reload
	;; [unrolled: 1-line block ×7, first 2 shown]
	ds_read_b128 v[32:35], v249 offset:9360
	v_mul_f64 v[48:49], v[2:3], s[0:1]
	v_mul_f64 v[50:51], v[4:5], s[0:1]
	s_waitcnt vmcnt(4) lgkmcnt(2)
	v_mul_f64 v[2:3], v[10:11], v[22:23]
	v_mul_f64 v[6:7], v[10:11], v[20:21]
	v_mov_b32_e32 v11, s2
	v_add_co_u32_e32 v10, vcc, s3, v0
	v_addc_co_u32_e32 v11, vcc, v1, v11, vcc
	global_store_dwordx4 v[10:11], v[48:51], off
	v_fma_f64 v[2:3], v[8:9], v[20:21], v[2:3]
	v_fma_f64 v[4:5], v[8:9], v[22:23], -v[6:7]
	s_waitcnt vmcnt(1) lgkmcnt(1)
	v_mul_f64 v[6:7], v[14:15], v[54:55]
	v_mul_f64 v[8:9], v[14:15], v[52:53]
	ds_read_b128 v[20:23], v249 offset:7488
	buffer_load_dword v15, off, s[48:51], 0 offset:16 ; 4-byte Folded Reload
	buffer_load_dword v16, off, s[48:51], 0 offset:20 ; 4-byte Folded Reload
	;; [unrolled: 1-line block ×4, first 2 shown]
	v_mov_b32_e32 v14, s2
	v_add_co_u32_e32 v10, vcc, s3, v10
	v_mul_f64 v[0:1], v[2:3], s[0:1]
	v_mul_f64 v[2:3], v[4:5], s[0:1]
	v_fma_f64 v[4:5], v[12:13], v[52:53], v[6:7]
	v_fma_f64 v[6:7], v[12:13], v[54:55], -v[8:9]
	v_addc_co_u32_e32 v11, vcc, v11, v14, vcc
	global_store_dwordx4 v[10:11], v[0:3], off
	s_nop 0
	v_mul_f64 v[0:1], v[4:5], s[0:1]
	v_mul_f64 v[2:3], v[6:7], s[0:1]
	v_add_co_u32_e32 v10, vcc, s3, v10
	v_addc_co_u32_e32 v11, vcc, v11, v14, vcc
	s_waitcnt vmcnt(1) lgkmcnt(0)
	v_mul_f64 v[8:9], v[17:18], v[22:23]
	v_mul_f64 v[12:13], v[17:18], v[20:21]
	v_fma_f64 v[4:5], v[15:16], v[20:21], v[8:9]
	v_fma_f64 v[6:7], v[15:16], v[22:23], -v[12:13]
	buffer_load_dword v15, off, s[48:51], 0 offset:144 ; 4-byte Folded Reload
	buffer_load_dword v16, off, s[48:51], 0 offset:148 ; 4-byte Folded Reload
	;; [unrolled: 1-line block ×4, first 2 shown]
	ds_read_b128 v[20:23], v249 offset:13104
	global_store_dwordx4 v[10:11], v[0:3], off
	v_add_co_u32_e32 v10, vcc, s3, v10
	v_mul_f64 v[0:1], v[4:5], s[0:1]
	v_mul_f64 v[2:3], v[6:7], s[0:1]
	ds_read_b128 v[4:7], v249 offset:11232
	buffer_load_dword v24, off, s[48:51], 0 offset:32 ; 4-byte Folded Reload
	buffer_load_dword v25, off, s[48:51], 0 offset:36 ; 4-byte Folded Reload
	;; [unrolled: 1-line block ×4, first 2 shown]
	s_waitcnt vmcnt(5)
	v_mul_f64 v[8:9], v[17:18], v[34:35]
	v_mul_f64 v[12:13], v[17:18], v[32:33]
	v_mov_b32_e32 v18, s2
	v_addc_co_u32_e32 v11, vcc, v11, v18, vcc
	global_store_dwordx4 v[10:11], v[0:3], off
	v_fma_f64 v[8:9], v[15:16], v[32:33], v[8:9]
	v_fma_f64 v[12:13], v[15:16], v[34:35], -v[12:13]
	s_waitcnt vmcnt(1) lgkmcnt(0)
	v_mul_f64 v[14:15], v[26:27], v[6:7]
	v_mul_f64 v[16:17], v[26:27], v[4:5]
	;; [unrolled: 1-line block ×4, first 2 shown]
	v_fma_f64 v[4:5], v[24:25], v[4:5], v[14:15]
	v_fma_f64 v[6:7], v[24:25], v[6:7], -v[16:17]
	v_mul_f64 v[8:9], v[42:43], v[22:23]
	v_add_co_u32_e32 v14, vcc, s3, v10
	v_addc_co_u32_e32 v15, vcc, v11, v18, vcc
	global_store_dwordx4 v[14:15], v[0:3], off
	v_mul_f64 v[12:13], v[42:43], v[20:21]
	v_mul_f64 v[0:1], v[4:5], s[0:1]
	;; [unrolled: 1-line block ×3, first 2 shown]
	ds_read_b128 v[4:7], v249 offset:14976
	v_fma_f64 v[16:17], v[40:41], v[20:21], v[8:9]
	ds_read_b128 v[8:11], v249 offset:16848
	buffer_load_dword v25, off, s[48:51], 0 offset:48 ; 4-byte Folded Reload
	buffer_load_dword v26, off, s[48:51], 0 offset:52 ; 4-byte Folded Reload
	;; [unrolled: 1-line block ×4, first 2 shown]
	v_mov_b32_e32 v24, s2
	v_fma_f64 v[12:13], v[40:41], v[22:23], -v[12:13]
	v_add_co_u32_e32 v14, vcc, s3, v14
	v_addc_co_u32_e32 v15, vcc, v15, v24, vcc
	global_store_dwordx4 v[14:15], v[0:3], off
	v_mov_b32_e32 v22, s2
	v_mul_f64 v[0:1], v[16:17], s[0:1]
	v_mul_f64 v[2:3], v[12:13], s[0:1]
	s_waitcnt lgkmcnt(0)
	v_mul_f64 v[12:13], v[46:47], v[10:11]
	v_mul_f64 v[16:17], v[46:47], v[8:9]
	v_add_co_u32_e32 v14, vcc, s3, v14
	v_addc_co_u32_e32 v15, vcc, v15, v22, vcc
	global_store_dwordx4 v[14:15], v[0:3], off
	v_fma_f64 v[12:13], v[44:45], v[8:9], v[12:13]
	v_fma_f64 v[16:17], v[44:45], v[10:11], -v[16:17]
	ds_read_b128 v[8:11], v249 offset:20592
	v_add_co_u32_e32 v14, vcc, s3, v14
	v_addc_co_u32_e32 v15, vcc, v15, v22, vcc
	s_waitcnt vmcnt(2)
	v_mul_f64 v[18:19], v[27:28], v[6:7]
	v_mul_f64 v[20:21], v[27:28], v[4:5]
	v_fma_f64 v[4:5], v[25:26], v[4:5], v[18:19]
	v_fma_f64 v[6:7], v[25:26], v[6:7], -v[20:21]
	v_mul_f64 v[0:1], v[4:5], s[0:1]
	v_mul_f64 v[2:3], v[6:7], s[0:1]
	ds_read_b128 v[4:7], v249 offset:18720
	buffer_load_dword v23, off, s[48:51], 0 offset:64 ; 4-byte Folded Reload
	buffer_load_dword v24, off, s[48:51], 0 offset:68 ; 4-byte Folded Reload
	;; [unrolled: 1-line block ×4, first 2 shown]
	s_waitcnt vmcnt(0) lgkmcnt(0)
	v_mul_f64 v[18:19], v[25:26], v[6:7]
	v_mul_f64 v[20:21], v[25:26], v[4:5]
	global_store_dwordx4 v[14:15], v[0:3], off
	v_add_co_u32_e32 v14, vcc, s3, v14
	v_mul_f64 v[0:1], v[12:13], s[0:1]
	v_mul_f64 v[2:3], v[16:17], s[0:1]
	v_addc_co_u32_e32 v15, vcc, v15, v22, vcc
	v_fma_f64 v[12:13], v[23:24], v[4:5], v[18:19]
	v_fma_f64 v[16:17], v[23:24], v[6:7], -v[20:21]
	ds_read_b128 v[4:7], v249 offset:22464
	buffer_load_dword v26, off, s[48:51], 0 offset:96 ; 4-byte Folded Reload
	buffer_load_dword v27, off, s[48:51], 0 offset:100 ; 4-byte Folded Reload
	;; [unrolled: 1-line block ×4, first 2 shown]
	s_waitcnt vmcnt(0)
	v_mul_f64 v[18:19], v[28:29], v[10:11]
	v_mul_f64 v[20:21], v[28:29], v[8:9]
	buffer_load_dword v28, off, s[48:51], 0 offset:112 ; 4-byte Folded Reload
	buffer_load_dword v29, off, s[48:51], 0 offset:116 ; 4-byte Folded Reload
	;; [unrolled: 1-line block ×4, first 2 shown]
	v_fma_f64 v[8:9], v[26:27], v[8:9], v[18:19]
	global_store_dwordx4 v[14:15], v[0:3], off
	v_fma_f64 v[10:11], v[26:27], v[10:11], -v[20:21]
	v_mul_f64 v[0:1], v[12:13], s[0:1]
	v_mul_f64 v[2:3], v[16:17], s[0:1]
	v_mov_b32_e32 v13, s2
	v_add_co_u32_e32 v12, vcc, s3, v14
	v_addc_co_u32_e32 v13, vcc, v15, v13, vcc
	global_store_dwordx4 v[12:13], v[0:3], off
	s_nop 0
	v_mul_f64 v[0:1], v[8:9], s[0:1]
	v_mul_f64 v[2:3], v[10:11], s[0:1]
	v_mov_b32_e32 v9, s2
	v_add_co_u32_e32 v8, vcc, s3, v12
	v_addc_co_u32_e32 v9, vcc, v13, v9, vcc
	global_store_dwordx4 v[8:9], v[0:3], off
	s_nop 0
	v_mov_b32_e32 v1, s2
	v_add_co_u32_e32 v0, vcc, s3, v8
	v_addc_co_u32_e32 v1, vcc, v9, v1, vcc
	s_waitcnt vmcnt(3) lgkmcnt(0)
	v_mul_f64 v[22:23], v[30:31], v[6:7]
	v_mul_f64 v[24:25], v[30:31], v[4:5]
	v_fma_f64 v[4:5], v[28:29], v[4:5], v[22:23]
	v_fma_f64 v[6:7], v[28:29], v[6:7], -v[24:25]
	v_mul_f64 v[4:5], v[4:5], s[0:1]
	v_mul_f64 v[6:7], v[6:7], s[0:1]
	global_store_dwordx4 v[0:1], v[4:7], off
.LBB0_18:
	s_endpgm
	.section	.rodata,"a",@progbits
	.p2align	6, 0x0
	.amdhsa_kernel bluestein_single_fwd_len1521_dim1_dp_op_CI_CI
		.amdhsa_group_segment_fixed_size 24336
		.amdhsa_private_segment_fixed_size 208
		.amdhsa_kernarg_size 104
		.amdhsa_user_sgpr_count 6
		.amdhsa_user_sgpr_private_segment_buffer 1
		.amdhsa_user_sgpr_dispatch_ptr 0
		.amdhsa_user_sgpr_queue_ptr 0
		.amdhsa_user_sgpr_kernarg_segment_ptr 1
		.amdhsa_user_sgpr_dispatch_id 0
		.amdhsa_user_sgpr_flat_scratch_init 0
		.amdhsa_user_sgpr_private_segment_size 0
		.amdhsa_uses_dynamic_stack 0
		.amdhsa_system_sgpr_private_segment_wavefront_offset 1
		.amdhsa_system_sgpr_workgroup_id_x 1
		.amdhsa_system_sgpr_workgroup_id_y 0
		.amdhsa_system_sgpr_workgroup_id_z 0
		.amdhsa_system_sgpr_workgroup_info 0
		.amdhsa_system_vgpr_workitem_id 0
		.amdhsa_next_free_vgpr 256
		.amdhsa_next_free_sgpr 52
		.amdhsa_reserve_vcc 1
		.amdhsa_reserve_flat_scratch 0
		.amdhsa_float_round_mode_32 0
		.amdhsa_float_round_mode_16_64 0
		.amdhsa_float_denorm_mode_32 3
		.amdhsa_float_denorm_mode_16_64 3
		.amdhsa_dx10_clamp 1
		.amdhsa_ieee_mode 1
		.amdhsa_fp16_overflow 0
		.amdhsa_exception_fp_ieee_invalid_op 0
		.amdhsa_exception_fp_denorm_src 0
		.amdhsa_exception_fp_ieee_div_zero 0
		.amdhsa_exception_fp_ieee_overflow 0
		.amdhsa_exception_fp_ieee_underflow 0
		.amdhsa_exception_fp_ieee_inexact 0
		.amdhsa_exception_int_div_zero 0
	.end_amdhsa_kernel
	.text
.Lfunc_end0:
	.size	bluestein_single_fwd_len1521_dim1_dp_op_CI_CI, .Lfunc_end0-bluestein_single_fwd_len1521_dim1_dp_op_CI_CI
                                        ; -- End function
	.section	.AMDGPU.csdata,"",@progbits
; Kernel info:
; codeLenInByte = 25468
; NumSgprs: 56
; NumVgprs: 256
; ScratchSize: 208
; MemoryBound: 0
; FloatMode: 240
; IeeeMode: 1
; LDSByteSize: 24336 bytes/workgroup (compile time only)
; SGPRBlocks: 6
; VGPRBlocks: 63
; NumSGPRsForWavesPerEU: 56
; NumVGPRsForWavesPerEU: 256
; Occupancy: 1
; WaveLimiterHint : 1
; COMPUTE_PGM_RSRC2:SCRATCH_EN: 1
; COMPUTE_PGM_RSRC2:USER_SGPR: 6
; COMPUTE_PGM_RSRC2:TRAP_HANDLER: 0
; COMPUTE_PGM_RSRC2:TGID_X_EN: 1
; COMPUTE_PGM_RSRC2:TGID_Y_EN: 0
; COMPUTE_PGM_RSRC2:TGID_Z_EN: 0
; COMPUTE_PGM_RSRC2:TIDIG_COMP_CNT: 0
	.type	__hip_cuid_3db900bd917e9f3a,@object ; @__hip_cuid_3db900bd917e9f3a
	.section	.bss,"aw",@nobits
	.globl	__hip_cuid_3db900bd917e9f3a
__hip_cuid_3db900bd917e9f3a:
	.byte	0                               ; 0x0
	.size	__hip_cuid_3db900bd917e9f3a, 1

	.ident	"AMD clang version 19.0.0git (https://github.com/RadeonOpenCompute/llvm-project roc-6.4.0 25133 c7fe45cf4b819c5991fe208aaa96edf142730f1d)"
	.section	".note.GNU-stack","",@progbits
	.addrsig
	.addrsig_sym __hip_cuid_3db900bd917e9f3a
	.amdgpu_metadata
---
amdhsa.kernels:
  - .args:
      - .actual_access:  read_only
        .address_space:  global
        .offset:         0
        .size:           8
        .value_kind:     global_buffer
      - .actual_access:  read_only
        .address_space:  global
        .offset:         8
        .size:           8
        .value_kind:     global_buffer
      - .actual_access:  read_only
        .address_space:  global
        .offset:         16
        .size:           8
        .value_kind:     global_buffer
      - .actual_access:  read_only
        .address_space:  global
        .offset:         24
        .size:           8
        .value_kind:     global_buffer
      - .actual_access:  read_only
        .address_space:  global
        .offset:         32
        .size:           8
        .value_kind:     global_buffer
      - .offset:         40
        .size:           8
        .value_kind:     by_value
      - .address_space:  global
        .offset:         48
        .size:           8
        .value_kind:     global_buffer
      - .address_space:  global
        .offset:         56
        .size:           8
        .value_kind:     global_buffer
      - .address_space:  global
        .offset:         64
        .size:           8
        .value_kind:     global_buffer
      - .address_space:  global
        .offset:         72
        .size:           8
        .value_kind:     global_buffer
      - .offset:         80
        .size:           4
        .value_kind:     by_value
      - .address_space:  global
        .offset:         88
        .size:           8
        .value_kind:     global_buffer
      - .address_space:  global
        .offset:         96
        .size:           8
        .value_kind:     global_buffer
    .group_segment_fixed_size: 24336
    .kernarg_segment_align: 8
    .kernarg_segment_size: 104
    .language:       OpenCL C
    .language_version:
      - 2
      - 0
    .max_flat_workgroup_size: 117
    .name:           bluestein_single_fwd_len1521_dim1_dp_op_CI_CI
    .private_segment_fixed_size: 208
    .sgpr_count:     56
    .sgpr_spill_count: 0
    .symbol:         bluestein_single_fwd_len1521_dim1_dp_op_CI_CI.kd
    .uniform_work_group_size: 1
    .uses_dynamic_stack: false
    .vgpr_count:     256
    .vgpr_spill_count: 51
    .wavefront_size: 64
amdhsa.target:   amdgcn-amd-amdhsa--gfx906
amdhsa.version:
  - 1
  - 2
...

	.end_amdgpu_metadata
